;; amdgpu-corpus repo=ROCm/rocFFT kind=compiled arch=gfx906 opt=O3
	.text
	.amdgcn_target "amdgcn-amd-amdhsa--gfx906"
	.amdhsa_code_object_version 6
	.protected	bluestein_single_fwd_len234_dim1_sp_op_CI_CI ; -- Begin function bluestein_single_fwd_len234_dim1_sp_op_CI_CI
	.globl	bluestein_single_fwd_len234_dim1_sp_op_CI_CI
	.p2align	8
	.type	bluestein_single_fwd_len234_dim1_sp_op_CI_CI,@function
bluestein_single_fwd_len234_dim1_sp_op_CI_CI: ; @bluestein_single_fwd_len234_dim1_sp_op_CI_CI
; %bb.0:
	s_load_dwordx4 s[0:3], s[4:5], 0x28
	v_mul_u32_u24_e32 v1, 0x9d9, v0
	v_lshrrev_b32_e32 v1, 16, v1
	v_lshl_add_u32 v48, s6, 1, v1
	v_mov_b32_e32 v49, 0
	s_waitcnt lgkmcnt(0)
	v_cmp_gt_u64_e32 vcc, s[0:1], v[48:49]
	s_and_saveexec_b64 s[0:1], vcc
	s_cbranch_execz .LBB0_23
; %bb.1:
	s_load_dwordx2 s[8:9], s[4:5], 0x0
	s_load_dwordx2 s[10:11], s[4:5], 0x38
	v_mul_lo_u16_e32 v2, 26, v1
	v_sub_u16_e32 v62, v0, v2
	v_and_b32_e32 v0, 1, v1
	v_mov_b32_e32 v1, 0xea
	v_cmp_eq_u32_e32 vcc, 1, v0
	v_cndmask_b32_e32 v63, 0, v1, vcc
	v_cmp_gt_u16_e64 s[0:1], 18, v62
	v_lshlrev_b32_e32 v61, 3, v62
	v_lshlrev_b32_e32 v64, 3, v63
	s_and_saveexec_b64 s[6:7], s[0:1]
	s_cbranch_execz .LBB0_3
; %bb.2:
	s_load_dwordx2 s[12:13], s[4:5], 0x18
	v_lshl_add_u32 v55, v62, 3, v64
	v_add_u32_e32 v56, v64, v61
	s_waitcnt lgkmcnt(0)
	s_load_dwordx4 s[12:15], s[12:13], 0x0
	s_waitcnt lgkmcnt(0)
	v_mad_u64_u32 v[0:1], s[16:17], s14, v48, 0
	v_mad_u64_u32 v[2:3], s[16:17], s12, v62, 0
	;; [unrolled: 1-line block ×4, first 2 shown]
	v_mov_b32_e32 v1, v4
	v_lshlrev_b64 v[0:1], 3, v[0:1]
	v_mov_b32_e32 v3, v5
	v_mov_b32_e32 v6, s3
	v_lshlrev_b64 v[2:3], 3, v[2:3]
	v_add_co_u32_e32 v0, vcc, s2, v0
	v_addc_co_u32_e32 v1, vcc, v6, v1, vcc
	v_add_co_u32_e32 v0, vcc, v0, v2
	s_mul_i32 s2, s13, 0x90
	s_mul_hi_u32 s3, s12, 0x90
	v_addc_co_u32_e32 v1, vcc, v1, v3, vcc
	s_add_i32 s2, s3, s2
	s_mul_i32 s3, s12, 0x90
	v_mov_b32_e32 v3, s2
	v_add_co_u32_e32 v2, vcc, s3, v0
	v_addc_co_u32_e32 v3, vcc, v1, v3, vcc
	v_mov_b32_e32 v5, s2
	v_add_co_u32_e32 v4, vcc, s3, v2
	v_addc_co_u32_e32 v5, vcc, v3, v5, vcc
	;; [unrolled: 3-line block ×3, first 2 shown]
	global_load_dwordx2 v[8:9], v[0:1], off
	global_load_dwordx2 v[10:11], v[2:3], off
	;; [unrolled: 1-line block ×4, first 2 shown]
	global_load_dwordx2 v[16:17], v61, s[8:9]
	global_load_dwordx2 v[18:19], v61, s[8:9] offset:144
	global_load_dwordx2 v[20:21], v61, s[8:9] offset:288
	;; [unrolled: 1-line block ×3, first 2 shown]
	v_mov_b32_e32 v1, s2
	v_add_co_u32_e32 v0, vcc, s3, v6
	v_addc_co_u32_e32 v1, vcc, v7, v1, vcc
	global_load_dwordx2 v[2:3], v[0:1], off
	global_load_dwordx2 v[4:5], v61, s[8:9] offset:576
	global_load_dwordx2 v[6:7], v61, s[8:9] offset:720
	;; [unrolled: 1-line block ×4, first 2 shown]
	v_mov_b32_e32 v28, s2
	v_add_co_u32_e32 v0, vcc, s3, v0
	v_addc_co_u32_e32 v1, vcc, v1, v28, vcc
	v_mov_b32_e32 v30, s2
	global_load_dwordx2 v[28:29], v[0:1], off
	v_add_co_u32_e32 v0, vcc, s3, v0
	v_addc_co_u32_e32 v1, vcc, v1, v30, vcc
	v_mov_b32_e32 v32, s2
	global_load_dwordx2 v[30:31], v[0:1], off
	;; [unrolled: 4-line block ×3, first 2 shown]
	v_add_co_u32_e32 v0, vcc, s3, v0
	v_addc_co_u32_e32 v1, vcc, v1, v34, vcc
	global_load_dwordx2 v[34:35], v[0:1], off
	v_mov_b32_e32 v36, s2
	v_add_co_u32_e32 v0, vcc, s3, v0
	v_addc_co_u32_e32 v1, vcc, v1, v36, vcc
	global_load_dwordx2 v[36:37], v[0:1], off
	global_load_dwordx2 v[38:39], v61, s[8:9] offset:1152
	global_load_dwordx2 v[40:41], v61, s[8:9] offset:1296
	v_mov_b32_e32 v42, s2
	v_add_co_u32_e32 v0, vcc, s3, v0
	v_addc_co_u32_e32 v1, vcc, v1, v42, vcc
	global_load_dwordx2 v[42:43], v[0:1], off
	v_mov_b32_e32 v44, s2
	v_add_co_u32_e32 v0, vcc, s3, v0
	v_addc_co_u32_e32 v1, vcc, v1, v44, vcc
	global_load_dwordx2 v[44:45], v61, s[8:9] offset:1440
	global_load_dwordx2 v[46:47], v[0:1], off
	global_load_dwordx2 v[49:50], v61, s[8:9] offset:1584
	v_mov_b32_e32 v51, s2
	v_add_co_u32_e32 v0, vcc, s3, v0
	v_addc_co_u32_e32 v1, vcc, v1, v51, vcc
	global_load_dwordx2 v[51:52], v[0:1], off
	global_load_dwordx2 v[53:54], v61, s[8:9] offset:1728
	s_waitcnt vmcnt(21)
	v_mul_f32_e32 v0, v9, v17
	v_mul_f32_e32 v1, v8, v17
	v_fmac_f32_e32 v0, v8, v16
	v_fma_f32 v1, v9, v16, -v1
	s_waitcnt vmcnt(20)
	v_mul_f32_e32 v8, v11, v19
	v_mul_f32_e32 v9, v10, v19
	ds_write_b64 v55, v[0:1]
	s_waitcnt vmcnt(19)
	v_mul_f32_e32 v0, v13, v21
	v_mul_f32_e32 v1, v12, v21
	v_fmac_f32_e32 v8, v10, v18
	v_fma_f32 v9, v11, v18, -v9
	v_fmac_f32_e32 v0, v12, v20
	v_fma_f32 v1, v13, v20, -v1
	s_waitcnt vmcnt(18)
	v_mul_f32_e32 v10, v15, v23
	v_mul_f32_e32 v11, v14, v23
	ds_write2_b64 v56, v[8:9], v[0:1] offset0:18 offset1:36
	s_waitcnt vmcnt(16)
	v_mul_f32_e32 v0, v3, v5
	v_mul_f32_e32 v1, v2, v5
	v_fmac_f32_e32 v10, v14, v22
	v_fma_f32 v11, v15, v22, -v11
	v_fmac_f32_e32 v0, v2, v4
	v_fma_f32 v1, v3, v4, -v1
	ds_write2_b64 v56, v[10:11], v[0:1] offset0:54 offset1:72
	s_waitcnt vmcnt(12)
	v_mul_f32_e32 v0, v29, v7
	v_mul_f32_e32 v1, v28, v7
	s_waitcnt vmcnt(11)
	v_mul_f32_e32 v2, v31, v25
	v_mul_f32_e32 v3, v30, v25
	v_fmac_f32_e32 v0, v28, v6
	v_fma_f32 v1, v29, v6, -v1
	v_fmac_f32_e32 v2, v30, v24
	v_fma_f32 v3, v31, v24, -v3
	ds_write2_b64 v56, v[0:1], v[2:3] offset0:90 offset1:108
	s_waitcnt vmcnt(10)
	v_mul_f32_e32 v0, v33, v27
	v_mul_f32_e32 v1, v32, v27
	v_fmac_f32_e32 v0, v32, v26
	v_fma_f32 v1, v33, v26, -v1
	s_waitcnt vmcnt(7)
	v_mul_f32_e32 v2, v35, v39
	v_mul_f32_e32 v3, v34, v39
	v_fmac_f32_e32 v2, v34, v38
	v_fma_f32 v3, v35, v38, -v3
	ds_write2_b64 v56, v[0:1], v[2:3] offset0:126 offset1:144
	s_waitcnt vmcnt(6)
	v_mul_f32_e32 v0, v37, v41
	v_mul_f32_e32 v1, v36, v41
	v_fmac_f32_e32 v0, v36, v40
	v_fma_f32 v1, v37, v40, -v1
	s_waitcnt vmcnt(4)
	v_mul_f32_e32 v2, v43, v45
	v_mul_f32_e32 v3, v42, v45
	v_fmac_f32_e32 v2, v42, v44
	v_fma_f32 v3, v43, v44, -v3
	ds_write2_b64 v56, v[0:1], v[2:3] offset0:162 offset1:180
	s_waitcnt vmcnt(2)
	v_mul_f32_e32 v0, v47, v50
	v_mul_f32_e32 v1, v46, v50
	v_fmac_f32_e32 v0, v46, v49
	s_waitcnt vmcnt(0)
	v_mul_f32_e32 v2, v52, v54
	v_mul_f32_e32 v3, v51, v54
	v_fma_f32 v1, v47, v49, -v1
	v_fmac_f32_e32 v2, v51, v53
	v_fma_f32 v3, v52, v53, -v3
	ds_write2_b64 v56, v[0:1], v[2:3] offset0:198 offset1:216
.LBB0_3:
	s_or_b64 exec, exec, s[6:7]
	s_load_dwordx2 s[2:3], s[4:5], 0x20
	s_load_dwordx2 s[12:13], s[4:5], 0x8
	v_mov_b32_e32 v4, 0
	v_mov_b32_e32 v5, 0
	s_waitcnt lgkmcnt(0)
	; wave barrier
	s_waitcnt lgkmcnt(0)
                                        ; implicit-def: $vgpr10
                                        ; implicit-def: $vgpr14
                                        ; implicit-def: $vgpr28
                                        ; implicit-def: $vgpr20
                                        ; implicit-def: $vgpr26
                                        ; implicit-def: $vgpr18
	s_and_saveexec_b64 s[4:5], s[0:1]
	s_cbranch_execz .LBB0_5
; %bb.4:
	v_lshl_add_u32 v0, v63, 3, v61
	ds_read2_b64 v[4:7], v0 offset1:18
	ds_read2_b64 v[16:19], v0 offset0:36 offset1:54
	ds_read2_b64 v[24:27], v0 offset0:72 offset1:90
	;; [unrolled: 1-line block ×5, first 2 shown]
	ds_read_b64 v[20:21], v0 offset:1728
.LBB0_5:
	s_or_b64 exec, exec, s[4:5]
	s_waitcnt lgkmcnt(0)
	v_sub_f32_e32 v68, v7, v21
	v_mul_f32_e32 v36, 0xbeedf032, v68
	v_sub_f32_e32 v79, v17, v31
	v_add_f32_e32 v32, v20, v6
	v_sub_f32_e32 v59, v6, v20
	v_mov_b32_e32 v0, v36
	v_mul_f32_e32 v39, 0xbf52af12, v79
	v_add_f32_e32 v33, v21, v7
	s_mov_b32 s6, 0x3f62ad3f
	v_mul_f32_e32 v38, 0xbeedf032, v59
	v_fmac_f32_e32 v0, 0x3f62ad3f, v32
	v_add_f32_e32 v34, v30, v16
	v_sub_f32_e32 v71, v16, v30
	v_mov_b32_e32 v2, v39
	v_add_f32_e32 v0, v0, v4
	v_fma_f32 v1, v33, s6, -v38
	s_mov_b32 s7, 0x3f116cb1
	v_add_f32_e32 v35, v31, v17
	v_mul_f32_e32 v42, 0xbf52af12, v71
	v_fmac_f32_e32 v2, 0x3f116cb1, v34
	v_sub_f32_e32 v81, v19, v29
	v_add_f32_e32 v1, v1, v5
	v_add_f32_e32 v0, v2, v0
	v_fma_f32 v2, v35, s7, -v42
	v_mul_f32_e32 v43, 0xbf7e222b, v81
	v_add_f32_e32 v1, v2, v1
	v_add_f32_e32 v37, v28, v18
	v_mov_b32_e32 v2, v43
	v_sub_f32_e32 v80, v18, v28
	v_fmac_f32_e32 v2, 0x3df6dbef, v37
	s_mov_b32 s14, 0x3df6dbef
	v_add_f32_e32 v40, v29, v19
	v_mul_f32_e32 v46, 0xbf7e222b, v80
	v_sub_f32_e32 v89, v25, v15
	v_add_f32_e32 v0, v2, v0
	v_fma_f32 v2, v40, s14, -v46
	v_mul_f32_e32 v47, 0xbf6f5d39, v89
	v_add_f32_e32 v1, v2, v1
	v_add_f32_e32 v41, v14, v24
	v_mov_b32_e32 v2, v47
	v_sub_f32_e32 v88, v24, v14
	v_fmac_f32_e32 v2, 0xbeb58ec6, v41
	s_mov_b32 s15, 0xbeb58ec6
	v_add_f32_e32 v44, v15, v25
	v_mul_f32_e32 v53, 0xbf6f5d39, v88
	v_sub_f32_e32 v94, v27, v13
	;; [unrolled: 12-line block ×3, first 2 shown]
	v_add_f32_e32 v0, v2, v0
	v_fma_f32 v2, v51, s16, -v56
	v_mul_f32_e32 v57, 0xbe750f2a, v99
	v_add_f32_e32 v1, v2, v1
	v_add_f32_e32 v52, v10, v8
	v_mov_b32_e32 v2, v57
	v_sub_f32_e32 v98, v8, v10
	s_mov_b32 s17, 0xbf788fa5
	v_fmac_f32_e32 v2, 0xbf788fa5, v52
	v_add_f32_e32 v55, v11, v9
	v_mul_f32_e32 v58, 0xbe750f2a, v98
	v_add_f32_e32 v49, v2, v0
	v_fma_f32 v0, v55, s17, -v58
	v_mul_f32_e32 v60, 0xbf52af12, v68
	v_add_f32_e32 v50, v0, v1
	v_mov_b32_e32 v0, v60
	v_mul_f32_e32 v66, 0xbf6f5d39, v79
	v_fmac_f32_e32 v0, 0x3f116cb1, v32
	v_mov_b32_e32 v1, v66
	v_add_f32_e32 v0, v0, v4
	v_fmac_f32_e32 v1, 0xbeb58ec6, v34
	v_mul_f32_e32 v72, 0xbf52af12, v59
	v_add_f32_e32 v0, v1, v0
	v_fma_f32 v1, v33, s7, -v72
	v_mul_f32_e32 v73, 0xbf6f5d39, v71
	v_add_f32_e32 v1, v1, v5
	v_fma_f32 v2, v35, s15, -v73
	v_mul_f32_e32 v67, 0xbe750f2a, v81
	v_add_f32_e32 v1, v2, v1
	v_mov_b32_e32 v2, v67
	v_fmac_f32_e32 v2, 0xbf788fa5, v37
	v_mul_f32_e32 v75, 0xbe750f2a, v80
	v_add_f32_e32 v0, v2, v0
	v_fma_f32 v2, v40, s17, -v75
	v_mul_f32_e32 v69, 0x3f29c268, v89
	v_add_f32_e32 v1, v2, v1
	v_mov_b32_e32 v2, v69
	v_fmac_f32_e32 v2, 0xbf3f9e67, v41
	;; [unrolled: 7-line block ×4, first 2 shown]
	v_mul_f32_e32 v78, 0x3eedf032, v98
	v_mul_f32_e32 v86, 0xbf7e222b, v68
	v_fma_f32 v3, v55, s6, -v78
	v_add_f32_e32 v2, v2, v0
	v_mov_b32_e32 v0, v86
	v_mul_f32_e32 v87, 0xbe750f2a, v79
	v_add_f32_e32 v3, v3, v1
	v_fmac_f32_e32 v0, 0x3df6dbef, v32
	v_mov_b32_e32 v1, v87
	v_add_f32_e32 v0, v0, v4
	v_fmac_f32_e32 v1, 0xbf788fa5, v34
	v_mul_f32_e32 v85, 0x3f6f5d39, v81
	v_add_f32_e32 v0, v1, v0
	v_mov_b32_e32 v1, v85
	v_fmac_f32_e32 v1, 0xbeb58ec6, v37
	v_mul_f32_e32 v84, 0x3eedf032, v89
	v_add_f32_e32 v0, v1, v0
	v_mov_b32_e32 v1, v84
	;; [unrolled: 4-line block ×4, first 2 shown]
	v_fmac_f32_e32 v1, 0xbf3f9e67, v52
	v_mul_f32_e32 v97, 0xbf7e222b, v59
	v_add_f32_e32 v0, v1, v0
	v_fma_f32 v1, v33, s14, -v97
	v_mul_f32_e32 v96, 0xbe750f2a, v71
	v_add_f32_e32 v1, v1, v5
	v_fma_f32 v22, v35, s17, -v96
	;; [unrolled: 3-line block ×6, first 2 shown]
	v_mul_f32_e32 v100, 0xbf6f5d39, v68
	v_add_f32_e32 v1, v22, v1
	v_mov_b32_e32 v22, v100
	v_mul_f32_e32 v101, 0x3f29c268, v79
	v_fmac_f32_e32 v22, 0xbeb58ec6, v32
	v_mov_b32_e32 v23, v101
	v_add_f32_e32 v22, v22, v4
	v_fmac_f32_e32 v23, 0xbf3f9e67, v34
	v_mul_f32_e32 v106, 0xbf6f5d39, v59
	v_add_f32_e32 v22, v23, v22
	v_fma_f32 v23, v33, s15, -v106
	v_mul_f32_e32 v107, 0x3f29c268, v71
	v_add_f32_e32 v23, v23, v5
	v_fma_f32 v65, v35, s16, -v107
	v_mul_f32_e32 v102, 0x3eedf032, v81
	v_add_f32_e32 v23, v65, v23
	v_mov_b32_e32 v65, v102
	v_fmac_f32_e32 v65, 0x3f62ad3f, v37
	v_mul_f32_e32 v108, 0x3eedf032, v80
	v_add_f32_e32 v22, v65, v22
	v_fma_f32 v65, v40, s6, -v108
	v_mul_f32_e32 v103, 0xbf7e222b, v89
	v_add_f32_e32 v23, v65, v23
	v_mov_b32_e32 v65, v103
	v_fmac_f32_e32 v65, 0x3df6dbef, v41
	;; [unrolled: 7-line block ×3, first 2 shown]
	v_mul_f32_e32 v110, 0x3e750f2a, v90
	v_add_f32_e32 v22, v65, v22
	v_fma_f32 v65, v51, s17, -v110
	v_mul_f32_e32 v105, 0x3f52af12, v99
	v_add_f32_e32 v23, v65, v23
	v_mov_b32_e32 v65, v105
	v_mul_f32_e32 v111, 0x3f52af12, v98
	v_fmac_f32_e32 v65, 0x3f116cb1, v52
	v_fma_f32 v112, v55, s7, -v111
	v_add_f32_e32 v22, v65, v22
	v_add_f32_e32 v23, v112, v23
	v_mul_lo_u16_e32 v65, 13, v62
	s_waitcnt lgkmcnt(0)
	; wave barrier
	s_and_saveexec_b64 s[4:5], s[0:1]
	s_cbranch_execz .LBB0_7
; %bb.6:
	v_mul_f32_e32 v116, 0xbf3f9e67, v33
	v_mov_b32_e32 v112, v116
	v_mul_f32_e32 v117, 0x3df6dbef, v35
	v_fmac_f32_e32 v112, 0x3f29c268, v59
	v_mov_b32_e32 v113, v117
	v_add_f32_e32 v112, v112, v5
	v_fmac_f32_e32 v113, 0xbf7e222b, v71
	v_mul_f32_e32 v118, 0x3f116cb1, v40
	v_add_f32_e32 v112, v113, v112
	v_mov_b32_e32 v113, v118
	v_fmac_f32_e32 v113, 0x3f52af12, v80
	v_mul_f32_e32 v119, 0xbf788fa5, v44
	v_add_f32_e32 v112, v113, v112
	v_mov_b32_e32 v113, v119
	v_fmac_f32_e32 v113, 0xbe750f2a, v88
	v_mul_f32_e32 v120, 0x3f62ad3f, v51
	v_add_f32_e32 v112, v113, v112
	v_mov_b32_e32 v113, v120
	v_fmac_f32_e32 v113, 0xbeedf032, v90
	v_mul_f32_e32 v121, 0xbf29c268, v68
	v_add_f32_e32 v112, v113, v112
	v_mov_b32_e32 v113, v121
	v_mul_f32_e32 v122, 0x3f7e222b, v79
	v_fmac_f32_e32 v113, 0xbf3f9e67, v32
	v_mov_b32_e32 v114, v122
	v_add_f32_e32 v113, v113, v4
	v_fmac_f32_e32 v114, 0x3df6dbef, v34
	v_mul_f32_e32 v123, 0xbf52af12, v81
	v_add_f32_e32 v113, v114, v113
	v_mov_b32_e32 v114, v123
	v_fmac_f32_e32 v114, 0x3f116cb1, v37
	v_mul_f32_e32 v124, 0x3e750f2a, v89
	v_add_f32_e32 v113, v114, v113
	v_mov_b32_e32 v114, v124
	v_fmac_f32_e32 v114, 0xbf788fa5, v41
	v_mul_f32_e32 v125, 0x3eedf032, v94
	v_add_f32_e32 v113, v114, v113
	v_mov_b32_e32 v114, v125
	v_fmac_f32_e32 v114, 0x3f62ad3f, v45
	v_mul_f32_e32 v126, 0xbeb58ec6, v55
	v_add_f32_e32 v114, v114, v113
	v_mov_b32_e32 v113, v126
	v_fmac_f32_e32 v113, 0x3f6f5d39, v98
	v_mul_f32_e32 v127, 0xbf6f5d39, v99
	v_add_f32_e32 v113, v113, v112
	v_mov_b32_e32 v112, v127
	v_fmac_f32_e32 v112, 0xbeb58ec6, v52
	v_mul_f32_e32 v128, 0xbe750f2a, v59
	v_add_f32_e32 v112, v112, v114
	v_mov_b32_e32 v114, v128
	v_mul_f32_e32 v129, 0x3eedf032, v71
	v_fmac_f32_e32 v114, 0xbf788fa5, v33
	v_mov_b32_e32 v115, v129
	v_add_f32_e32 v114, v114, v5
	v_fmac_f32_e32 v115, 0x3f62ad3f, v35
	v_mul_f32_e32 v130, 0xbf29c268, v80
	v_mul_f32_e32 v133, 0xbe750f2a, v68
	v_add_f32_e32 v114, v115, v114
	v_mov_b32_e32 v115, v130
	v_fma_f32 v68, v32, s17, -v133
	v_mul_f32_e32 v134, 0x3eedf032, v79
	v_fmac_f32_e32 v115, 0xbf3f9e67, v40
	v_mul_f32_e32 v131, 0x3f52af12, v88
	v_add_f32_e32 v68, v68, v4
	v_fma_f32 v79, v34, s6, -v134
	v_mul_f32_e32 v135, 0xbf29c268, v81
	v_add_f32_e32 v114, v115, v114
	v_mov_b32_e32 v115, v131
	v_add_f32_e32 v68, v79, v68
	v_fma_f32 v79, v37, s16, -v135
	v_mul_f32_e32 v136, 0x3f52af12, v89
	v_fmac_f32_e32 v115, 0x3f116cb1, v44
	v_mul_f32_e32 v132, 0xbf6f5d39, v90
	v_add_f32_e32 v68, v79, v68
	v_fma_f32 v79, v41, s7, -v136
	v_mul_f32_e32 v94, 0xbf6f5d39, v94
	v_add_f32_e32 v114, v115, v114
	v_mov_b32_e32 v115, v132
	v_add_f32_e32 v68, v79, v68
	v_fma_f32 v79, v45, s15, -v94
	v_mul_f32_e32 v137, 0x3f7e222b, v98
	v_fmac_f32_e32 v115, 0xbeb58ec6, v51
	v_add_f32_e32 v68, v79, v68
	v_mov_b32_e32 v79, v137
	v_add_f32_e32 v114, v115, v114
	v_fmac_f32_e32 v79, 0x3df6dbef, v55
	v_mul_f32_e32 v99, 0x3f7e222b, v99
	v_mul_f32_e32 v81, 0xbeb58ec6, v32
	v_add_f32_e32 v115, v79, v114
	v_fma_f32 v79, v52, s14, -v99
	v_fmac_f32_e32 v116, 0xbf29c268, v59
	v_fmac_f32_e32 v119, 0x3e750f2a, v88
	v_sub_f32_e32 v81, v81, v100
	v_mul_f32_e32 v88, 0xbf3f9e67, v34
	v_add_f32_e32 v114, v79, v68
	v_fmac_f32_e32 v117, 0x3f7e222b, v71
	v_add_f32_e32 v59, v116, v5
	v_fma_f32 v68, v32, s16, -v121
	v_sub_f32_e32 v88, v88, v101
	v_add_f32_e32 v81, v81, v4
	v_add_f32_e32 v59, v117, v59
	v_fmac_f32_e32 v118, 0xbf52af12, v80
	v_add_f32_e32 v68, v68, v4
	v_fma_f32 v71, v34, s14, -v122
	v_add_f32_e32 v81, v88, v81
	v_mul_f32_e32 v88, 0x3f62ad3f, v37
	v_add_f32_e32 v59, v118, v59
	v_add_f32_e32 v68, v71, v68
	v_fma_f32 v71, v37, s7, -v123
	v_sub_f32_e32 v88, v88, v102
	v_add_f32_e32 v59, v119, v59
	v_fmac_f32_e32 v120, 0x3eedf032, v90
	v_add_f32_e32 v68, v71, v68
	v_fma_f32 v71, v41, s17, -v124
	v_add_f32_e32 v81, v88, v81
	v_mul_f32_e32 v88, 0x3df6dbef, v41
	v_add_f32_e32 v59, v120, v59
	v_fmac_f32_e32 v126, 0xbf6f5d39, v98
	v_add_f32_e32 v68, v71, v68
	v_fma_f32 v71, v45, s6, -v125
	v_sub_f32_e32 v88, v88, v103
	v_add_f32_e32 v68, v71, v68
	v_add_f32_e32 v80, v126, v59
	v_fma_f32 v59, v52, s15, -v127
	v_add_f32_e32 v81, v88, v81
	v_mul_f32_e32 v88, 0xbf788fa5, v45
	v_add_f32_e32 v79, v59, v68
	v_mul_f32_e32 v59, 0xbeb58ec6, v33
	v_sub_f32_e32 v88, v88, v104
	v_add_f32_e32 v59, v106, v59
	v_mul_f32_e32 v68, 0xbf3f9e67, v35
	v_add_f32_e32 v81, v88, v81
	v_mul_f32_e32 v88, 0x3f116cb1, v52
	v_add_f32_e32 v68, v107, v68
	v_add_f32_e32 v59, v59, v5
	v_mul_f32_e32 v101, 0x3df6dbef, v33
	v_sub_f32_e32 v88, v88, v105
	v_add_f32_e32 v59, v68, v59
	v_mul_f32_e32 v68, 0x3f62ad3f, v40
	v_add_f32_e32 v88, v88, v81
	v_add_f32_e32 v81, v97, v101
	v_mul_f32_e32 v97, 0xbf788fa5, v35
	v_add_f32_e32 v68, v108, v68
	v_add_f32_e32 v96, v96, v97
	;; [unrolled: 1-line block ×4, first 2 shown]
	v_mul_f32_e32 v68, 0x3df6dbef, v44
	v_add_f32_e32 v81, v96, v81
	v_mul_f32_e32 v96, 0xbeb58ec6, v40
	v_add_f32_e32 v68, v109, v68
	v_add_f32_e32 v95, v95, v96
	;; [unrolled: 1-line block ×3, first 2 shown]
	v_mul_f32_e32 v68, 0xbf788fa5, v51
	v_add_f32_e32 v81, v95, v81
	v_mul_f32_e32 v95, 0x3f62ad3f, v44
	v_add_f32_e32 v68, v110, v68
	v_add_f32_e32 v93, v93, v95
	;; [unrolled: 1-line block ×3, first 2 shown]
	v_mul_f32_e32 v68, 0x3f116cb1, v55
	v_add_f32_e32 v81, v93, v81
	v_mul_f32_e32 v93, 0x3f116cb1, v51
	v_add_f32_e32 v68, v111, v68
	;; [unrolled: 2-line block ×3, first 2 shown]
	v_add_f32_e32 v89, v68, v59
	v_mul_f32_e32 v68, 0xbf788fa5, v34
	v_add_f32_e32 v81, v92, v81
	v_mul_f32_e32 v92, 0xbf3f9e67, v55
	v_sub_f32_e32 v86, v100, v86
	v_add_f32_e32 v91, v91, v92
	v_mul_f32_e32 v92, 0xbeb58ec6, v37
	v_sub_f32_e32 v68, v68, v87
	v_add_f32_e32 v86, v86, v4
	v_add_f32_e32 v68, v68, v86
	v_sub_f32_e32 v85, v92, v85
	v_add_f32_e32 v68, v85, v68
	v_mul_f32_e32 v85, 0x3f62ad3f, v41
	v_sub_f32_e32 v84, v85, v84
	v_mul_f32_e32 v90, 0x3f62ad3f, v33
	v_mul_f32_e32 v106, 0x3f116cb1, v33
	v_add_f32_e32 v68, v84, v68
	v_mul_f32_e32 v84, 0x3f116cb1, v45
	v_mul_f32_e32 v103, 0x3f116cb1, v35
	;; [unrolled: 1-line block ×3, first 2 shown]
	v_sub_f32_e32 v83, v84, v83
	v_add_f32_e32 v72, v72, v106
	v_add_f32_e32 v38, v38, v90
	;; [unrolled: 1-line block ×4, first 2 shown]
	v_mul_f32_e32 v96, 0x3df6dbef, v40
	v_mul_f32_e32 v93, 0xbf788fa5, v40
	v_add_f32_e32 v68, v83, v68
	v_mul_f32_e32 v83, 0xbf3f9e67, v52
	v_add_f32_e32 v59, v73, v59
	v_add_f32_e32 v72, v72, v5
	;; [unrolled: 1-line block ×6, first 2 shown]
	v_mul_f32_e32 v87, 0xbeb58ec6, v44
	v_mul_f32_e32 v92, 0xbf3f9e67, v44
	v_sub_f32_e32 v83, v83, v82
	v_add_f32_e32 v59, v59, v72
	v_add_f32_e32 v75, v75, v93
	;; [unrolled: 1-line block ×6, first 2 shown]
	v_mul_f32_e32 v84, 0xbf3f9e67, v51
	v_add_f32_e32 v82, v91, v81
	v_add_f32_e32 v81, v83, v68
	v_mul_f32_e32 v68, 0x3df6dbef, v51
	v_add_f32_e32 v59, v75, v59
	v_add_f32_e32 v75, v76, v92
	;; [unrolled: 1-line block ×6, first 2 shown]
	v_mul_f32_e32 v71, 0x3f62ad3f, v32
	v_mul_f32_e32 v91, 0xbf788fa5, v55
	v_mul_f32_e32 v72, 0x3f62ad3f, v55
	v_add_f32_e32 v59, v75, v59
	v_add_f32_e32 v68, v77, v68
	;; [unrolled: 1-line block ×6, first 2 shown]
	v_mul_f32_e32 v98, 0x3f116cb1, v32
	v_mul_f32_e32 v102, 0x3f116cb1, v34
	v_add_f32_e32 v59, v68, v59
	v_add_f32_e32 v68, v78, v72
	;; [unrolled: 1-line block ×4, first 2 shown]
	v_sub_f32_e32 v36, v71, v36
	v_add_f32_e32 v7, v9, v7
	v_add_f32_e32 v6, v8, v6
	v_fma_f32 v8, v33, s17, -v128
	v_mul_f32_e32 v104, 0xbeb58ec6, v34
	v_mul_f32_e32 v97, 0x3df6dbef, v37
	v_add_f32_e32 v68, v68, v59
	v_sub_f32_e32 v59, v98, v60
	v_add_f32_e32 v58, v42, v38
	v_add_f32_e32 v36, v36, v4
	v_sub_f32_e32 v38, v102, v39
	v_add_f32_e32 v7, v11, v7
	v_add_f32_e32 v6, v10, v6
	;; [unrolled: 1-line block ×3, first 2 shown]
	v_fma_f32 v8, v35, s6, -v129
	v_fmac_f32_e32 v133, 0xbf788fa5, v32
	v_mul_f32_e32 v95, 0xbf788fa5, v37
	v_mul_f32_e32 v100, 0xbeb58ec6, v41
	v_add_f32_e32 v59, v59, v4
	v_sub_f32_e32 v60, v104, v66
	v_add_f32_e32 v36, v38, v36
	v_sub_f32_e32 v38, v97, v43
	v_add_f32_e32 v7, v13, v7
	v_add_f32_e32 v6, v12, v6
	v_add_f32_e32 v5, v8, v5
	v_fma_f32 v8, v40, s16, -v130
	v_add_f32_e32 v4, v133, v4
	v_fmac_f32_e32 v134, 0x3f62ad3f, v34
	v_mul_f32_e32 v86, 0xbf3f9e67, v41
	v_mul_f32_e32 v85, 0xbf3f9e67, v45
	v_add_f32_e32 v59, v60, v59
	v_sub_f32_e32 v60, v95, v67
	v_add_f32_e32 v36, v38, v36
	v_sub_f32_e32 v38, v100, v47
	v_add_f32_e32 v7, v15, v7
	v_add_f32_e32 v6, v14, v6
	v_add_f32_e32 v5, v8, v5
	v_fma_f32 v8, v44, s7, -v131
	v_add_f32_e32 v4, v134, v4
	;; [unrolled: 12-line block ×3, first 2 shown]
	v_fmac_f32_e32 v136, 0x3f116cb1, v41
	v_mul_f32_e32 v73, 0x3f62ad3f, v52
	v_add_f32_e32 v59, v60, v59
	v_sub_f32_e32 v60, v101, v70
	v_add_f32_e32 v36, v38, v36
	v_sub_f32_e32 v38, v83, v57
	v_add_f32_e32 v7, v31, v7
	v_add_f32_e32 v6, v30, v6
	v_add_f32_e32 v5, v8, v5
	v_fma_f32 v8, v55, s14, -v137
	v_add_f32_e32 v4, v136, v4
	v_fmac_f32_e32 v94, 0xbeb58ec6, v45
	v_add_f32_e32 v59, v60, v59
	v_sub_f32_e32 v60, v73, v74
	v_add_f32_e32 v57, v38, v36
	v_add_f32_e32 v7, v21, v7
	;; [unrolled: 1-line block ×5, first 2 shown]
	v_fmac_f32_e32 v99, 0x3df6dbef, v52
	v_add_lshl_u32 v8, v63, v65, 3
	v_add_f32_e32 v67, v60, v59
	v_add_f32_e32 v4, v99, v4
	ds_write2_b64 v8, v[6:7], v[57:58] offset1:1
	ds_write2_b64 v8, v[67:68], v[81:82] offset0:2 offset1:3
	ds_write2_b64 v8, v[88:89], v[79:80] offset0:4 offset1:5
	;; [unrolled: 1-line block ×5, first 2 shown]
	ds_write_b64 v8, v[49:50] offset:96
.LBB0_7:
	s_or_b64 exec, exec, s[4:5]
	v_add_co_u32_e32 v32, vcc, -13, v62
	s_load_dwordx4 s[4:7], s[2:3], 0x0
	v_addc_co_u32_e64 v33, s[2:3], 0, -1, vcc
	v_cmp_gt_u16_e64 s[2:3], 13, v62
	v_cndmask_b32_e64 v43, v33, 0, s[2:3]
	v_cndmask_b32_e64 v42, v32, v62, s[2:3]
	v_lshlrev_b64 v[4:5], 6, v[42:43]
	v_mov_b32_e32 v6, s13
	v_add_co_u32_e32 v20, vcc, s12, v4
	v_addc_co_u32_e32 v21, vcc, v6, v5, vcc
	s_waitcnt lgkmcnt(0)
	; wave barrier
	s_waitcnt lgkmcnt(0)
	global_load_dwordx4 v[16:19], v[20:21], off
	global_load_dwordx4 v[12:15], v[20:21], off offset:16
	global_load_dwordx4 v[8:11], v[20:21], off offset:32
	;; [unrolled: 1-line block ×3, first 2 shown]
	v_add_lshl_u32 v66, v63, v62, 3
	ds_read2_b64 v[24:27], v66 offset1:26
	ds_read2_b64 v[28:31], v66 offset0:52 offset1:78
	ds_read2_b64 v[34:37], v66 offset0:104 offset1:130
	;; [unrolled: 1-line block ×3, first 2 shown]
	ds_read_b64 v[20:21], v66 offset:1664
	s_waitcnt lgkmcnt(4)
	v_mov_b32_e32 v44, v25
	v_mov_b32_e32 v43, v24
	s_mov_b32 s14, 0xbf248dbb
	v_cmp_lt_u16_e32 vcc, 12, v62
	s_waitcnt lgkmcnt(0)
	; wave barrier
	s_waitcnt vmcnt(3) lgkmcnt(0)
	v_mul_f32_e32 v45, v27, v17
	v_mul_f32_e32 v46, v26, v17
	;; [unrolled: 1-line block ×3, first 2 shown]
	s_waitcnt vmcnt(0)
	v_mul_f32_e32 v68, v21, v7
	v_mul_f32_e32 v69, v20, v7
	;; [unrolled: 1-line block ×11, first 2 shown]
	v_fma_f32 v26, v26, v16, -v45
	v_fmac_f32_e32 v46, v27, v16
	v_fma_f32 v20, v20, v6, -v68
	v_fmac_f32_e32 v69, v21, v6
	v_mul_f32_e32 v55, v34, v15
	v_mul_f32_e32 v57, v36, v9
	v_fma_f32 v27, v28, v18, -v47
	v_fmac_f32_e32 v51, v29, v18
	v_fma_f32 v28, v30, v12, -v52
	v_fmac_f32_e32 v53, v31, v12
	v_fma_f32 v45, v34, v14, -v54
	v_fma_f32 v47, v36, v8, -v56
	v_fma_f32 v29, v38, v10, -v58
	v_fmac_f32_e32 v59, v39, v10
	v_fma_f32 v30, v40, v4, -v60
	v_fmac_f32_e32 v67, v41, v4
	v_add_f32_e32 v41, v46, v69
	v_sub_f32_e32 v38, v26, v20
	v_fmac_f32_e32 v55, v35, v14
	v_fmac_f32_e32 v57, v37, v8
	v_add_f32_e32 v40, v26, v20
	v_add_f32_e32 v52, v27, v30
	v_add_f32_e32 v54, v51, v67
	v_add_f32_e32 v58, v53, v59
	v_sub_f32_e32 v39, v46, v69
	v_sub_f32_e32 v46, v27, v30
	;; [unrolled: 1-line block ×4, first 2 shown]
	v_mul_f32_e32 v21, 0x3f248dbb, v38
	v_fmac_f32_e32 v44, 0x3f441b7d, v41
	v_add_f32_e32 v56, v28, v29
	v_sub_f32_e32 v51, v51, v67
	v_sub_f32_e32 v60, v28, v29
	;; [unrolled: 1-line block ×3, first 2 shown]
	v_add_f32_e32 v68, v45, v47
	v_mul_f32_e32 v20, 0x3f248dbb, v39
	v_fmac_f32_e32 v43, 0x3f441b7d, v40
	v_fmac_f32_e32 v21, 0x3f7c1c5c, v46
	;; [unrolled: 1-line block ×3, first 2 shown]
	v_add_f32_e32 v34, v59, v38
	v_add_f32_e32 v70, v52, v40
	;; [unrolled: 1-line block ×3, first 2 shown]
	v_fmac_f32_e32 v20, 0x3f7c1c5c, v51
	v_fmac_f32_e32 v43, 0x3e31d0d4, v52
	;; [unrolled: 1-line block ×3, first 2 shown]
	v_fmac_f32_e32 v44, -0.5, v58
	v_add_f32_e32 v35, v67, v39
	v_sub_f32_e32 v36, v34, v46
	v_add_f32_e32 v34, v56, v24
	v_add_f32_e32 v71, v54, v41
	;; [unrolled: 1-line block ×3, first 2 shown]
	v_fmac_f32_e32 v20, 0x3f5db3d7, v53
	v_fmac_f32_e32 v43, -0.5, v56
	v_fmac_f32_e32 v21, 0x3eaf1d44, v59
	v_fmac_f32_e32 v44, 0xbf708fb2, v69
	v_sub_f32_e32 v37, v35, v51
	v_add_f32_e32 v35, v58, v25
	v_add_f32_e32 v73, v69, v71
	v_fmac_f32_e32 v34, -0.5, v72
	v_fmac_f32_e32 v20, 0x3eaf1d44, v67
	v_fmac_f32_e32 v43, 0xbf708fb2, v68
	v_sub_f32_e32 v27, v44, v21
	v_mul_f32_e32 v44, 0x3f5db3d7, v37
	v_fmac_f32_e32 v35, -0.5, v73
	v_fmac_f32_e32 v34, 0x3f5db3d7, v37
	v_add_f32_e32 v26, v20, v43
	v_mul_f32_e32 v43, 0x3f5db3d7, v36
	v_fmac_f32_e32 v35, 0xbf5db3d7, v36
	v_fma_f32 v36, -2.0, v44, v34
	v_mul_f32_e32 v44, 0x3f7c1c5c, v67
	v_fma_f32 v44, v51, s14, -v44
	v_mul_f32_e32 v30, 0xbf248dbb, v67
	v_fmac_f32_e32 v44, 0x3f5db3d7, v53
	v_fmac_f32_e32 v30, 0x3f7c1c5c, v39
	v_fma_f32 v37, 2.0, v43, v35
	v_mul_f32_e32 v43, 0x3f7c1c5c, v59
	v_fmac_f32_e32 v44, 0x3eaf1d44, v39
	v_add_f32_e32 v39, v58, v71
	v_fma_f32 v43, v46, s14, -v43
	v_add_f32_e32 v39, v55, v39
	v_mul_f32_e32 v31, 0xbf248dbb, v59
	v_fmac_f32_e32 v43, 0x3f5db3d7, v60
	v_add_f32_e32 v39, v57, v39
	v_fmac_f32_e32 v31, 0x3f7c1c5c, v38
	v_mov_b32_e32 v29, v25
	v_fmac_f32_e32 v43, 0x3eaf1d44, v38
	v_add_f32_e32 v38, v56, v70
	v_add_f32_e32 v39, v39, v25
	v_fmac_f32_e32 v25, 0x3f441b7d, v54
	v_add_f32_e32 v38, v45, v38
	v_fmac_f32_e32 v25, 0x3e31d0d4, v69
	v_mov_b32_e32 v28, v24
	v_add_f32_e32 v38, v47, v38
	v_fmac_f32_e32 v25, -0.5, v58
	v_fmac_f32_e32 v28, 0x3f441b7d, v68
	v_fmac_f32_e32 v29, 0x3f441b7d, v69
	v_add_f32_e32 v38, v38, v24
	v_fmac_f32_e32 v24, 0x3f441b7d, v52
	v_fmac_f32_e32 v25, 0xbf708fb2, v41
	;; [unrolled: 1-line block ×5, first 2 shown]
	v_sub_f32_e32 v25, v25, v43
	v_fmac_f32_e32 v31, 0xbf5db3d7, v60
	v_fmac_f32_e32 v30, 0xbf5db3d7, v53
	v_fmac_f32_e32 v28, -0.5, v56
	v_fmac_f32_e32 v29, -0.5, v58
	;; [unrolled: 1-line block ×3, first 2 shown]
	v_fma_f32 v41, 2.0, v43, v25
	v_mov_b32_e32 v43, 0x75
	v_fmac_f32_e32 v31, 0x3eaf1d44, v46
	v_fmac_f32_e32 v30, 0x3eaf1d44, v51
	;; [unrolled: 1-line block ×5, first 2 shown]
	v_cndmask_b32_e32 v43, 0, v43, vcc
	v_add_f32_e32 v28, v30, v28
	v_sub_f32_e32 v29, v29, v31
	v_add_f32_e32 v24, v44, v24
	v_add_u32_e32 v42, v42, v43
	v_fma_f32 v30, -2.0, v30, v28
	v_fma_f32 v31, 2.0, v31, v29
	v_fma_f32 v40, -2.0, v44, v24
	v_add_lshl_u32 v68, v63, v42, 3
	v_fma_f32 v20, -2.0, v20, v26
	v_fma_f32 v21, 2.0, v21, v27
	ds_write2_b64 v68, v[38:39], v[26:27] offset1:13
	ds_write2_b64 v68, v[28:29], v[34:35] offset0:26 offset1:39
	ds_write2_b64 v68, v[24:25], v[40:41] offset0:52 offset1:65
	;; [unrolled: 1-line block ×3, first 2 shown]
	ds_write_b64 v68, v[20:21] offset:832
	s_waitcnt lgkmcnt(0)
	; wave barrier
	s_waitcnt lgkmcnt(0)
	ds_read2_b64 v[40:43], v66 offset1:26
	ds_read2_b64 v[24:27], v66 offset0:117 offset1:143
	ds_read2_b64 v[44:47], v66 offset0:52 offset1:78
	;; [unrolled: 1-line block ×3, first 2 shown]
	s_and_saveexec_b64 s[14:15], s[2:3]
	s_cbranch_execz .LBB0_9
; %bb.8:
	ds_read2_b64 v[20:23], v66 offset0:104 offset1:221
	v_add_co_u32_e32 v32, vcc, 0x68, v62
	v_addc_co_u32_e64 v33, s[16:17], 0, 0, vcc
.LBB0_9:
	s_or_b64 exec, exec, s[14:15]
	v_lshlrev_b64 v[32:33], 3, v[32:33]
	v_mov_b32_e32 v34, s13
	v_add_co_u32_e32 v32, vcc, s12, v32
	v_addc_co_u32_e32 v33, vcc, v34, v33, vcc
	global_load_dwordx2 v[53:54], v61, s[12:13] offset:832
	global_load_dwordx2 v[55:56], v61, s[12:13] offset:1040
	;; [unrolled: 1-line block ×4, first 2 shown]
	global_load_dwordx2 v[51:52], v[32:33], off offset:832
	v_lshl_add_u32 v67, v62, 3, v64
	v_add_u32_e32 v69, v61, v64
	s_waitcnt vmcnt(4) lgkmcnt(2)
	v_mul_f32_e32 v33, v24, v54
	s_waitcnt vmcnt(3)
	v_mul_f32_e32 v34, v27, v56
	v_mul_f32_e32 v35, v26, v56
	;; [unrolled: 1-line block ×3, first 2 shown]
	s_waitcnt vmcnt(2) lgkmcnt(0)
	v_mul_f32_e32 v36, v29, v58
	v_mul_f32_e32 v37, v28, v58
	s_waitcnt vmcnt(1)
	v_mul_f32_e32 v38, v31, v60
	v_mul_f32_e32 v39, v30, v60
	v_fmac_f32_e32 v33, v25, v53
	v_fma_f32 v25, v26, v55, -v34
	v_fmac_f32_e32 v35, v27, v55
	s_waitcnt vmcnt(0)
	v_mul_f32_e32 v70, v23, v52
	v_mul_f32_e32 v71, v22, v52
	v_fma_f32 v24, v24, v53, -v32
	v_fma_f32 v28, v28, v57, -v36
	v_fmac_f32_e32 v37, v29, v57
	v_fma_f32 v29, v30, v59, -v38
	v_fmac_f32_e32 v39, v31, v59
	v_sub_f32_e32 v30, v42, v25
	v_sub_f32_e32 v31, v43, v35
	v_fma_f32 v22, v22, v51, -v70
	v_fmac_f32_e32 v71, v23, v51
	v_sub_f32_e32 v26, v40, v24
	v_sub_f32_e32 v27, v41, v33
	v_sub_f32_e32 v34, v44, v28
	v_sub_f32_e32 v35, v45, v37
	v_sub_f32_e32 v38, v46, v29
	v_sub_f32_e32 v39, v47, v39
	v_fma_f32 v28, v42, 2.0, -v30
	v_fma_f32 v29, v43, 2.0, -v31
	v_sub_f32_e32 v42, v20, v22
	v_sub_f32_e32 v43, v21, v71
	v_fma_f32 v24, v40, 2.0, -v26
	v_fma_f32 v25, v41, 2.0, -v27
	;; [unrolled: 1-line block ×8, first 2 shown]
	ds_write2_b64 v67, v[26:27], v[30:31] offset0:117 offset1:143
	ds_write2_b64 v67, v[24:25], v[28:29] offset1:26
	ds_write_b64 v67, v[32:33] offset:416
	ds_write_b64 v69, v[34:35] offset:1352
	ds_write_b64 v67, v[36:37] offset:624
	ds_write_b64 v69, v[38:39] offset:1560
	s_and_saveexec_b64 s[12:13], s[2:3]
	s_cbranch_execz .LBB0_11
; %bb.10:
	ds_write2_b64 v67, v[40:41], v[42:43] offset0:104 offset1:221
.LBB0_11:
	s_or_b64 exec, exec, s[12:13]
	s_waitcnt lgkmcnt(0)
	; wave barrier
	s_waitcnt lgkmcnt(0)
	s_and_saveexec_b64 s[12:13], s[0:1]
	s_cbranch_execz .LBB0_13
; %bb.12:
	global_load_dwordx2 v[86:87], v61, s[8:9] offset:1872
	s_add_u32 s14, s8, 0x750
	s_addc_u32 s15, s9, 0
	global_load_dwordx2 v[88:89], v61, s[14:15] offset:144
	global_load_dwordx2 v[90:91], v61, s[14:15] offset:288
	;; [unrolled: 1-line block ×12, first 2 shown]
	ds_read2_b64 v[20:23], v67 offset1:18
	ds_read2_b64 v[44:47], v67 offset0:36 offset1:54
	ds_read2_b64 v[70:73], v67 offset0:72 offset1:90
	;; [unrolled: 1-line block ×5, first 2 shown]
	ds_read_b64 v[112:113], v67 offset:1728
	s_waitcnt vmcnt(9) lgkmcnt(5)
	v_mul_f32_e32 v116, v47, v93
	s_waitcnt vmcnt(8) lgkmcnt(4)
	v_mul_f32_e32 v117, v71, v95
	s_waitcnt vmcnt(7)
	v_mul_f32_e32 v118, v73, v97
	s_waitcnt vmcnt(6) lgkmcnt(3)
	v_mul_f32_e32 v119, v75, v99
	s_waitcnt vmcnt(5)
	v_mul_f32_e32 v120, v77, v101
	s_waitcnt vmcnt(4) lgkmcnt(2)
	v_mul_f32_e32 v121, v79, v103
	v_mul_f32_e32 v114, v21, v87
	;; [unrolled: 1-line block ×3, first 2 shown]
	v_fma_f32 v114, v20, v86, -v114
	v_fmac_f32_e32 v115, v21, v86
	v_mul_f32_e32 v20, v23, v89
	v_mul_f32_e32 v21, v22, v89
	;; [unrolled: 1-line block ×10, first 2 shown]
	s_waitcnt vmcnt(3)
	v_mul_f32_e32 v122, v81, v105
	v_mul_f32_e32 v101, v80, v105
	s_waitcnt vmcnt(2) lgkmcnt(1)
	v_mul_f32_e32 v123, v83, v107
	v_mul_f32_e32 v103, v82, v107
	s_waitcnt vmcnt(1)
	v_mul_f32_e32 v124, v85, v109
	v_mul_f32_e32 v105, v84, v109
	s_waitcnt vmcnt(0) lgkmcnt(0)
	v_mul_f32_e32 v109, v113, v111
	v_mul_f32_e32 v107, v112, v111
	v_fma_f32 v20, v22, v88, -v20
	v_fmac_f32_e32 v21, v23, v88
	v_fma_f32 v86, v44, v90, -v86
	v_fmac_f32_e32 v87, v45, v90
	;; [unrolled: 2-line block ×12, first 2 shown]
	ds_write2_b64 v67, v[114:115], v[20:21] offset1:18
	ds_write2_b64 v67, v[86:87], v[88:89] offset0:36 offset1:54
	ds_write2_b64 v67, v[90:91], v[92:93] offset0:72 offset1:90
	;; [unrolled: 1-line block ×5, first 2 shown]
	ds_write_b64 v67, v[106:107] offset:1728
.LBB0_13:
	s_or_b64 exec, exec, s[12:13]
	s_waitcnt lgkmcnt(0)
	; wave barrier
	s_waitcnt lgkmcnt(0)
	s_and_saveexec_b64 s[12:13], s[0:1]
	s_cbranch_execz .LBB0_15
; %bb.14:
	ds_read2_b64 v[24:27], v67 offset1:18
	ds_read2_b64 v[28:31], v67 offset0:36 offset1:54
	ds_read2_b64 v[32:35], v67 offset0:72 offset1:90
	ds_read2_b64 v[36:39], v67 offset0:108 offset1:126
	ds_read2_b64 v[40:43], v67 offset0:144 offset1:162
	ds_read2_b64 v[0:3], v67 offset0:180 offset1:198
	ds_read_b64 v[49:50], v67 offset:1728
.LBB0_15:
	s_or_b64 exec, exec, s[12:13]
	s_waitcnt lgkmcnt(0)
	v_sub_f32_e32 v76, v27, v50
	v_add_f32_e32 v22, v49, v26
	v_add_f32_e32 v79, v50, v27
	s_mov_b32 s14, 0xbeb58ec6
	v_mul_f32_e32 v88, 0xbf6f5d39, v76
	v_sub_f32_e32 v77, v29, v3
	v_mul_f32_e32 v90, 0xbeb58ec6, v79
	v_fma_f32 v20, v22, s14, -v88
	v_add_f32_e32 v23, v2, v28
	v_add_f32_e32 v81, v3, v29
	s_mov_b32 s15, 0xbf3f9e67
	v_mul_f32_e32 v89, 0x3f29c268, v77
	v_sub_f32_e32 v44, v26, v49
	v_add_f32_e32 v20, v24, v20
	v_mov_b32_e32 v21, v90
	v_mul_f32_e32 v92, 0xbf3f9e67, v81
	v_fma_f32 v45, v23, s15, -v89
	v_fmac_f32_e32 v21, 0xbf6f5d39, v44
	v_sub_f32_e32 v46, v28, v2
	v_add_f32_e32 v20, v45, v20
	v_mov_b32_e32 v45, v92
	v_add_f32_e32 v21, v25, v21
	v_fmac_f32_e32 v45, 0x3f29c268, v46
	v_sub_f32_e32 v78, v31, v1
	v_add_f32_e32 v21, v45, v21
	v_add_f32_e32 v45, v0, v30
	v_add_f32_e32 v83, v1, v31
	s_mov_b32 s16, 0x3f62ad3f
	v_mul_f32_e32 v91, 0x3eedf032, v78
	v_mul_f32_e32 v94, 0x3f62ad3f, v83
	v_fma_f32 v47, v45, s16, -v91
	v_sub_f32_e32 v70, v30, v0
	v_add_f32_e32 v20, v47, v20
	v_mov_b32_e32 v47, v94
	v_fmac_f32_e32 v47, 0x3eedf032, v70
	v_sub_f32_e32 v80, v33, v43
	v_add_f32_e32 v21, v47, v21
	v_add_f32_e32 v47, v42, v32
	v_add_f32_e32 v85, v43, v33
	s_mov_b32 s17, 0x3df6dbef
	v_mul_f32_e32 v93, 0xbf7e222b, v80
	v_mul_f32_e32 v96, 0x3df6dbef, v85
	v_fma_f32 v71, v47, s17, -v93
	v_sub_f32_e32 v72, v32, v42
	v_add_f32_e32 v20, v71, v20
	v_mov_b32_e32 v71, v96
	;; [unrolled: 12-line block ×4, first 2 shown]
	v_fmac_f32_e32 v100, 0x3f52af12, v75
	v_add_f32_e32 v21, v100, v21
	s_waitcnt lgkmcnt(0)
	; wave barrier
	s_and_saveexec_b64 s[12:13], s[0:1]
	s_cbranch_execz .LBB0_17
; %bb.16:
	v_mul_f32_e32 v106, 0xbeb58ec6, v22
	v_mul_f32_e32 v108, 0xbf3f9e67, v23
	v_add_f32_e32 v88, v106, v88
	v_mul_f32_e32 v107, 0xbf6f5d39, v44
	v_mul_f32_e32 v110, 0x3f62ad3f, v45
	v_add_f32_e32 v88, v24, v88
	v_add_f32_e32 v89, v108, v89
	v_mul_f32_e32 v109, 0x3f29c268, v46
	v_mul_f32_e32 v112, 0x3df6dbef, v47
	v_sub_f32_e32 v90, v90, v107
	v_add_f32_e32 v88, v89, v88
	v_add_f32_e32 v89, v110, v91
	v_mul_f32_e32 v111, 0x3eedf032, v70
	v_mul_f32_e32 v114, 0xbf788fa5, v71
	v_add_f32_e32 v90, v25, v90
	v_sub_f32_e32 v92, v92, v109
	v_add_f32_e32 v88, v89, v88
	v_add_f32_e32 v89, v112, v93
	v_mul_f32_e32 v113, 0xbf7e222b, v72
	v_mul_f32_e32 v116, 0x3f116cb1, v73
	v_add_f32_e32 v90, v92, v90
	v_sub_f32_e32 v92, v94, v111
	v_add_f32_e32 v88, v89, v88
	v_add_f32_e32 v89, v114, v95
	v_mul_f32_e32 v115, 0x3e750f2a, v74
	v_add_f32_e32 v90, v92, v90
	v_sub_f32_e32 v92, v96, v113
	v_add_f32_e32 v88, v89, v88
	v_add_f32_e32 v89, v116, v97
	v_mul_f32_e32 v117, 0x3f52af12, v75
	v_add_f32_e32 v90, v92, v90
	v_sub_f32_e32 v92, v98, v115
	v_add_f32_e32 v89, v89, v88
	v_mul_f32_e32 v88, 0x3df6dbef, v79
	v_add_f32_e32 v90, v92, v90
	v_sub_f32_e32 v92, v99, v117
	v_mov_b32_e32 v91, v88
	v_mul_f32_e32 v95, 0xbf788fa5, v81
	v_add_f32_e32 v90, v92, v90
	v_fmac_f32_e32 v91, 0x3f7e222b, v44
	v_mov_b32_e32 v92, v95
	v_add_f32_e32 v91, v25, v91
	v_fmac_f32_e32 v92, 0x3e750f2a, v46
	v_mul_f32_e32 v96, 0xbeb58ec6, v83
	v_add_f32_e32 v91, v92, v91
	v_mov_b32_e32 v92, v96
	v_fmac_f32_e32 v92, 0xbf6f5d39, v70
	v_mul_f32_e32 v97, 0x3f62ad3f, v85
	v_add_f32_e32 v91, v92, v91
	v_mov_b32_e32 v92, v97
	v_fmac_f32_e32 v92, 0xbeedf032, v72
	v_mul_f32_e32 v98, 0x3f116cb1, v86
	v_mul_f32_e32 v104, 0xbf29c268, v44
	v_add_f32_e32 v91, v92, v91
	v_mov_b32_e32 v92, v98
	v_mov_b32_e32 v100, v104
	v_mul_f32_e32 v105, 0x3f7e222b, v46
	v_fmac_f32_e32 v92, 0x3f52af12, v74
	v_mul_f32_e32 v99, 0xbf3f9e67, v87
	v_fmac_f32_e32 v100, 0xbf3f9e67, v79
	v_mov_b32_e32 v101, v105
	v_add_f32_e32 v91, v92, v91
	v_mov_b32_e32 v92, v99
	v_add_f32_e32 v100, v25, v100
	v_fmac_f32_e32 v101, 0x3df6dbef, v81
	v_mul_f32_e32 v118, 0xbf52af12, v70
	v_fmac_f32_e32 v92, 0x3f29c268, v75
	v_mul_f32_e32 v106, 0xbf7e222b, v76
	v_add_f32_e32 v100, v101, v100
	v_mov_b32_e32 v101, v118
	v_add_f32_e32 v92, v92, v91
	v_mov_b32_e32 v91, v106
	v_mul_f32_e32 v107, 0xbe750f2a, v77
	v_fmac_f32_e32 v101, 0x3f116cb1, v83
	v_mul_f32_e32 v119, 0x3e750f2a, v72
	v_fmac_f32_e32 v91, 0x3df6dbef, v22
	v_mov_b32_e32 v93, v107
	v_add_f32_e32 v100, v101, v100
	v_mov_b32_e32 v101, v119
	v_add_f32_e32 v91, v24, v91
	v_fmac_f32_e32 v93, 0xbf788fa5, v23
	v_mul_f32_e32 v108, 0x3f6f5d39, v78
	v_fmac_f32_e32 v101, 0xbf788fa5, v85
	v_mul_f32_e32 v120, 0x3eedf032, v74
	v_add_f32_e32 v91, v93, v91
	v_mov_b32_e32 v93, v108
	v_add_f32_e32 v100, v101, v100
	v_mov_b32_e32 v101, v120
	v_fmac_f32_e32 v93, 0xbeb58ec6, v45
	v_mul_f32_e32 v109, 0x3eedf032, v80
	v_fmac_f32_e32 v101, 0x3f62ad3f, v86
	v_mul_f32_e32 v121, 0xbf6f5d39, v75
	v_add_f32_e32 v91, v93, v91
	v_mov_b32_e32 v93, v109
	v_add_f32_e32 v100, v101, v100
	v_mov_b32_e32 v101, v121
	v_fmac_f32_e32 v93, 0x3f62ad3f, v47
	v_mul_f32_e32 v110, 0xbf52af12, v82
	v_fmac_f32_e32 v101, 0xbeb58ec6, v87
	v_mul_f32_e32 v122, 0xbf29c268, v76
	v_add_f32_e32 v91, v93, v91
	v_mov_b32_e32 v93, v110
	v_add_f32_e32 v101, v101, v100
	v_fma_f32 v100, v22, s15, -v122
	v_mul_f32_e32 v123, 0x3f7e222b, v77
	v_fmac_f32_e32 v93, 0x3f116cb1, v71
	v_mul_f32_e32 v111, 0xbf29c268, v84
	v_add_f32_e32 v27, v27, v25
	v_add_f32_e32 v100, v24, v100
	v_fma_f32 v102, v23, s17, -v123
	v_mul_f32_e32 v124, 0xbf52af12, v78
	v_add_f32_e32 v91, v93, v91
	v_mov_b32_e32 v93, v111
	v_add_f32_e32 v27, v29, v27
	v_add_f32_e32 v100, v102, v100
	v_fma_f32 v102, v45, s19, -v124
	v_mul_f32_e32 v125, 0x3e750f2a, v80
	v_fmac_f32_e32 v93, 0xbf3f9e67, v73
	v_mul_f32_e32 v112, 0x3f116cb1, v79
	v_add_f32_e32 v27, v31, v27
	v_add_f32_e32 v100, v102, v100
	v_fma_f32 v102, v47, s18, -v125
	v_mul_f32_e32 v126, 0x3eedf032, v82
	v_add_f32_e32 v91, v93, v91
	v_mov_b32_e32 v93, v112
	v_mul_f32_e32 v113, 0xbeb58ec6, v81
	v_add_f32_e32 v27, v33, v27
	v_add_f32_e32 v100, v102, v100
	v_fma_f32 v102, v71, s16, -v126
	v_mul_f32_e32 v127, 0xbf6f5d39, v84
	v_fmac_f32_e32 v93, 0x3f52af12, v44
	v_mov_b32_e32 v94, v113
	v_add_f32_e32 v27, v35, v27
	v_add_f32_e32 v100, v102, v100
	v_fma_f32 v102, v73, s14, -v127
	v_mul_f32_e32 v128, 0xbf788fa5, v79
	v_add_f32_e32 v93, v25, v93
	v_fmac_f32_e32 v94, 0x3f6f5d39, v46
	v_mul_f32_e32 v114, 0xbf788fa5, v83
	v_add_f32_e32 v27, v37, v27
	v_add_f32_e32 v100, v102, v100
	v_mov_b32_e32 v102, v128
	v_mul_f32_e32 v129, 0x3f62ad3f, v81
	v_add_f32_e32 v93, v94, v93
	v_mov_b32_e32 v94, v114
	v_add_f32_e32 v27, v39, v27
	v_fmac_f32_e32 v102, 0x3e750f2a, v44
	v_mov_b32_e32 v103, v129
	v_fmac_f32_e32 v94, 0x3e750f2a, v70
	v_mul_f32_e32 v115, 0xbf3f9e67, v85
	v_add_f32_e32 v27, v41, v27
	v_add_f32_e32 v102, v25, v102
	v_fmac_f32_e32 v103, 0xbeedf032, v46
	v_mul_f32_e32 v130, 0xbf3f9e67, v83
	v_add_f32_e32 v93, v94, v93
	v_mov_b32_e32 v94, v115
	v_add_f32_e32 v27, v43, v27
	v_add_f32_e32 v102, v103, v102
	v_mov_b32_e32 v103, v130
	v_fmac_f32_e32 v94, 0xbf29c268, v72
	v_mul_f32_e32 v116, 0x3df6dbef, v86
	v_add_f32_e32 v1, v1, v27
	v_fmac_f32_e32 v103, 0x3f29c268, v70
	v_mul_f32_e32 v131, 0x3f116cb1, v85
	v_add_f32_e32 v93, v94, v93
	v_mov_b32_e32 v94, v116
	v_add_f32_e32 v1, v3, v1
	v_add_f32_e32 v3, v26, v24
	;; [unrolled: 1-line block ×3, first 2 shown]
	v_mov_b32_e32 v103, v131
	v_fma_f32 v104, v79, s15, -v104
	v_fmac_f32_e32 v94, 0xbf7e222b, v74
	v_mul_f32_e32 v117, 0x3f62ad3f, v87
	v_add_f32_e32 v3, v28, v3
	v_fmac_f32_e32 v103, 0xbf52af12, v72
	v_mul_f32_e32 v132, 0xbeb58ec6, v86
	v_add_f32_e32 v104, v25, v104
	v_fma_f32 v105, v81, s17, -v105
	v_add_f32_e32 v93, v94, v93
	v_mov_b32_e32 v94, v117
	v_add_f32_e32 v3, v30, v3
	v_add_f32_e32 v102, v103, v102
	v_mov_b32_e32 v103, v132
	v_add_f32_e32 v104, v105, v104
	v_fma_f32 v105, v83, s19, -v118
	v_fmac_f32_e32 v94, 0xbeedf032, v75
	v_mul_f32_e32 v118, 0xbf52af12, v76
	v_add_f32_e32 v3, v32, v3
	v_fmac_f32_e32 v103, 0x3f6f5d39, v74
	v_mul_f32_e32 v133, 0x3df6dbef, v87
	v_add_f32_e32 v104, v105, v104
	v_fma_f32 v105, v85, s18, -v119
	v_add_f32_e32 v94, v94, v93
	v_mov_b32_e32 v93, v118
	v_mul_f32_e32 v119, 0xbf6f5d39, v77
	v_add_f32_e32 v3, v34, v3
	v_add_f32_e32 v102, v103, v102
	v_mov_b32_e32 v103, v133
	v_add_f32_e32 v104, v105, v104
	v_fma_f32 v105, v86, s16, -v120
	v_fmac_f32_e32 v93, 0x3f116cb1, v22
	v_mov_b32_e32 v120, v119
	v_add_f32_e32 v3, v36, v3
	v_fmac_f32_e32 v103, 0xbf7e222b, v75
	v_mul_f32_e32 v134, 0xbe750f2a, v76
	v_add_f32_e32 v93, v24, v93
	v_fmac_f32_e32 v120, 0xbeb58ec6, v23
	v_add_f32_e32 v3, v38, v3
	v_add_f32_e32 v103, v103, v102
	v_mov_b32_e32 v102, v134
	v_mul_f32_e32 v135, 0x3eedf032, v77
	v_add_f32_e32 v93, v120, v93
	v_mul_f32_e32 v120, 0xbe750f2a, v78
	v_add_f32_e32 v3, v40, v3
	v_fmac_f32_e32 v102, 0xbf788fa5, v22
	v_mov_b32_e32 v136, v135
	v_add_f32_e32 v104, v105, v104
	v_fma_f32 v105, v87, s14, -v121
	v_mov_b32_e32 v121, v120
	v_add_f32_e32 v3, v42, v3
	v_add_f32_e32 v102, v24, v102
	v_fmac_f32_e32 v136, 0x3f62ad3f, v23
	v_fmac_f32_e32 v121, 0xbf788fa5, v45
	v_add_f32_e32 v0, v0, v3
	v_fmac_f32_e32 v128, 0xbe750f2a, v44
	v_add_f32_e32 v102, v136, v102
	v_mul_f32_e32 v136, 0xbf29c268, v78
	v_fmac_f32_e32 v122, 0xbf3f9e67, v22
	v_add_f32_e32 v93, v121, v93
	v_mul_f32_e32 v121, 0x3f29c268, v80
	v_add_f32_e32 v0, v2, v0
	v_add_f32_e32 v2, v25, v128
	v_fmac_f32_e32 v129, 0x3eedf032, v46
	v_mov_b32_e32 v137, v136
	v_add_f32_e32 v105, v105, v104
	v_add_f32_e32 v104, v24, v122
	v_mov_b32_e32 v122, v121
	v_add_f32_e32 v2, v129, v2
	v_fmac_f32_e32 v130, 0xbf29c268, v70
	v_fmac_f32_e32 v137, 0xbf3f9e67, v45
	;; [unrolled: 1-line block ×3, first 2 shown]
	v_add_f32_e32 v2, v130, v2
	v_fmac_f32_e32 v131, 0x3f52af12, v72
	v_add_f32_e32 v102, v137, v102
	v_mul_f32_e32 v137, 0x3f52af12, v80
	v_fmac_f32_e32 v123, 0x3df6dbef, v23
	v_add_f32_e32 v93, v122, v93
	v_mul_f32_e32 v122, 0x3f7e222b, v82
	v_add_f32_e32 v2, v131, v2
	v_fmac_f32_e32 v132, 0xbf6f5d39, v74
	v_mov_b32_e32 v138, v137
	v_add_f32_e32 v104, v123, v104
	v_mov_b32_e32 v123, v122
	v_add_f32_e32 v2, v132, v2
	v_fmac_f32_e32 v133, 0x3f7e222b, v75
	v_fmac_f32_e32 v138, 0x3f116cb1, v47
	v_fmac_f32_e32 v123, 0x3df6dbef, v71
	v_add_f32_e32 v3, v133, v2
	v_fma_f32 v2, v22, s18, -v134
	v_add_f32_e32 v102, v138, v102
	v_mul_f32_e32 v138, 0xbf6f5d39, v82
	v_fmac_f32_e32 v124, 0x3f116cb1, v45
	v_add_f32_e32 v93, v123, v93
	v_mul_f32_e32 v123, 0x3eedf032, v84
	v_add_f32_e32 v2, v24, v2
	v_fma_f32 v26, v23, s16, -v135
	v_mov_b32_e32 v139, v138
	v_add_f32_e32 v104, v124, v104
	v_mov_b32_e32 v124, v123
	v_add_f32_e32 v2, v26, v2
	v_fma_f32 v26, v45, s15, -v136
	v_fmac_f32_e32 v139, 0xbeb58ec6, v71
	v_fmac_f32_e32 v124, 0x3f62ad3f, v73
	v_add_f32_e32 v2, v26, v2
	v_fma_f32 v26, v47, s19, -v137
	v_add_f32_e32 v102, v139, v102
	v_mul_f32_e32 v139, 0x3f7e222b, v84
	v_add_f32_e32 v93, v124, v93
	v_mul_f32_e32 v124, 0x3f62ad3f, v79
	v_add_f32_e32 v2, v26, v2
	v_fma_f32 v26, v71, s14, -v138
	v_fmac_f32_e32 v125, 0xbf788fa5, v47
	v_mov_b32_e32 v79, v124
	v_mul_f32_e32 v81, 0x3f116cb1, v81
	v_add_f32_e32 v2, v26, v2
	v_fma_f32 v26, v73, s17, -v139
	v_fmac_f32_e32 v88, 0xbf7e222b, v44
	v_add_f32_e32 v104, v125, v104
	v_fmac_f32_e32 v79, 0x3eedf032, v44
	v_mov_b32_e32 v125, v81
	v_add_f32_e32 v2, v26, v2
	v_add_f32_e32 v26, v25, v88
	v_fmac_f32_e32 v95, 0xbe750f2a, v46
	v_add_f32_e32 v79, v25, v79
	v_fmac_f32_e32 v125, 0x3f52af12, v46
	v_mul_f32_e32 v83, 0x3df6dbef, v83
	v_add_f32_e32 v26, v95, v26
	v_fmac_f32_e32 v96, 0x3f6f5d39, v70
	v_add_f32_e32 v79, v125, v79
	v_mov_b32_e32 v125, v83
	v_add_f32_e32 v26, v96, v26
	v_fmac_f32_e32 v97, 0x3eedf032, v72
	v_fmac_f32_e32 v125, 0x3f7e222b, v70
	v_mul_f32_e32 v85, 0xbeb58ec6, v85
	v_add_f32_e32 v26, v97, v26
	v_fmac_f32_e32 v98, 0xbf52af12, v74
	v_add_f32_e32 v79, v125, v79
	v_mov_b32_e32 v125, v85
	v_add_f32_e32 v26, v98, v26
	v_fmac_f32_e32 v99, 0xbf29c268, v75
	v_fmac_f32_e32 v125, 0x3f6f5d39, v72
	v_mul_f32_e32 v86, 0xbf3f9e67, v86
	v_add_f32_e32 v27, v99, v26
	v_fma_f32 v26, v22, s17, -v106
	v_add_f32_e32 v79, v125, v79
	v_mov_b32_e32 v125, v86
	v_add_f32_e32 v26, v24, v26
	v_fma_f32 v28, v23, s18, -v107
	v_fmac_f32_e32 v125, 0x3f29c268, v74
	v_mul_f32_e32 v87, 0xbf788fa5, v87
	v_add_f32_e32 v26, v28, v26
	v_fma_f32 v28, v45, s14, -v108
	v_add_f32_e32 v79, v125, v79
	v_mov_b32_e32 v125, v87
	v_add_f32_e32 v26, v28, v26
	v_fma_f32 v28, v47, s16, -v109
	v_fmac_f32_e32 v125, 0x3e750f2a, v75
	v_mul_f32_e32 v76, 0xbeedf032, v76
	v_add_f32_e32 v26, v28, v26
	v_fma_f32 v28, v71, s19, -v110
	v_fmac_f32_e32 v126, 0x3f62ad3f, v71
	v_add_f32_e32 v79, v125, v79
	v_mov_b32_e32 v125, v76
	v_mul_f32_e32 v77, 0xbf52af12, v77
	v_add_f32_e32 v26, v28, v26
	v_fma_f32 v28, v73, s15, -v111
	v_fmac_f32_e32 v112, 0xbf52af12, v44
	v_add_f32_e32 v104, v126, v104
	v_fmac_f32_e32 v125, 0x3f62ad3f, v22
	v_mov_b32_e32 v126, v77
	v_add_f32_e32 v26, v28, v26
	v_add_f32_e32 v28, v25, v112
	v_fmac_f32_e32 v113, 0xbf6f5d39, v46
	v_add_f32_e32 v125, v24, v125
	v_fmac_f32_e32 v126, 0x3f116cb1, v23
	;; [unrolled: 2-line block ×3, first 2 shown]
	v_add_f32_e32 v125, v126, v125
	v_mul_f32_e32 v126, 0xbf7e222b, v78
	v_add_f32_e32 v28, v114, v28
	v_fmac_f32_e32 v115, 0x3f29c268, v72
	v_mov_b32_e32 v78, v126
	v_add_f32_e32 v28, v115, v28
	v_fmac_f32_e32 v116, 0x3f7e222b, v74
	v_fmac_f32_e32 v78, 0x3df6dbef, v45
	v_mul_f32_e32 v80, 0xbf6f5d39, v80
	v_add_f32_e32 v28, v116, v28
	v_fmac_f32_e32 v117, 0x3eedf032, v75
	v_add_f32_e32 v78, v78, v125
	v_mov_b32_e32 v125, v80
	v_add_f32_e32 v29, v117, v28
	v_fma_f32 v28, v22, s19, -v118
	v_fma_f32 v22, v22, s16, -v76
	v_fmac_f32_e32 v125, 0xbeb58ec6, v47
	v_mul_f32_e32 v82, 0xbf29c268, v82
	v_fma_f32 v30, v23, s14, -v119
	v_fmac_f32_e32 v124, 0xbeedf032, v44
	v_add_f32_e32 v22, v24, v22
	v_fma_f32 v23, v23, s19, -v77
	v_add_f32_e32 v78, v125, v78
	v_mov_b32_e32 v125, v82
	v_add_f32_e32 v28, v24, v28
	v_add_f32_e32 v25, v25, v124
	v_fmac_f32_e32 v81, 0xbf52af12, v46
	v_add_f32_e32 v22, v23, v22
	v_fma_f32 v23, v45, s17, -v126
	v_fmac_f32_e32 v125, 0xbf3f9e67, v71
	v_mul_f32_e32 v84, 0xbe750f2a, v84
	v_add_f32_e32 v28, v30, v28
	v_fma_f32 v30, v45, s18, -v120
	v_add_f32_e32 v25, v81, v25
	v_fmac_f32_e32 v83, 0xbf7e222b, v70
	v_add_f32_e32 v22, v23, v22
	v_fma_f32 v23, v47, s14, -v80
	v_add_f32_e32 v78, v125, v78
	v_mov_b32_e32 v125, v84
	v_add_f32_e32 v28, v30, v28
	v_fma_f32 v30, v47, s15, -v121
	v_add_f32_e32 v25, v83, v25
	v_fmac_f32_e32 v85, 0xbf6f5d39, v72
	v_add_f32_e32 v22, v23, v22
	v_fma_f32 v23, v71, s15, -v82
	v_mov_b32_e32 v140, v139
	v_fmac_f32_e32 v125, 0xbf788fa5, v73
	v_add_f32_e32 v28, v30, v28
	v_fma_f32 v30, v71, s17, -v122
	v_add_f32_e32 v25, v85, v25
	v_fmac_f32_e32 v86, 0xbf29c268, v74
	v_add_f32_e32 v22, v23, v22
	v_fma_f32 v23, v73, s18, -v84
	v_fmac_f32_e32 v140, 0x3df6dbef, v73
	v_fmac_f32_e32 v127, 0xbeb58ec6, v73
	v_add_f32_e32 v78, v125, v78
	v_add_f32_e32 v1, v50, v1
	;; [unrolled: 1-line block ×4, first 2 shown]
	v_fma_f32 v30, v73, s16, -v123
	v_add_f32_e32 v25, v86, v25
	v_fmac_f32_e32 v87, 0xbe750f2a, v75
	v_add_f32_e32 v24, v23, v22
	v_lshl_add_u32 v22, v65, 3, v64
	v_add_f32_e32 v102, v140, v102
	v_add_f32_e32 v104, v127, v104
	v_add_f32_e32 v28, v30, v28
	v_add_f32_e32 v25, v87, v25
	ds_write2_b64 v22, v[0:1], v[78:79] offset1:1
	ds_write2_b64 v22, v[93:94], v[91:92] offset0:2 offset1:3
	ds_write2_b64 v22, v[89:90], v[104:105] offset0:4 offset1:5
	;; [unrolled: 1-line block ×5, first 2 shown]
	ds_write_b64 v22, v[24:25] offset:96
.LBB0_17:
	s_or_b64 exec, exec, s[12:13]
	s_waitcnt lgkmcnt(0)
	; wave barrier
	s_waitcnt lgkmcnt(0)
	ds_read2_b64 v[0:3], v66 offset1:26
	ds_read2_b64 v[22:25], v66 offset0:52 offset1:78
	ds_read2_b64 v[26:29], v66 offset0:104 offset1:130
	ds_read2_b64 v[30:33], v66 offset0:156 offset1:182
	ds_read_b64 v[34:35], v66 offset:1664
	s_waitcnt lgkmcnt(4)
	v_mul_f32_e32 v36, v17, v3
	v_fmac_f32_e32 v36, v16, v2
	v_mul_f32_e32 v2, v17, v2
	s_waitcnt lgkmcnt(3)
	v_mul_f32_e32 v17, v13, v25
	v_mul_f32_e32 v13, v13, v24
	v_fmac_f32_e32 v17, v12, v24
	v_fma_f32 v12, v12, v25, -v13
	s_waitcnt lgkmcnt(2)
	v_mul_f32_e32 v13, v15, v27
	v_mul_f32_e32 v15, v15, v26
	v_fma_f32 v2, v16, v3, -v2
	v_mul_f32_e32 v3, v19, v23
	v_fmac_f32_e32 v13, v14, v26
	v_fma_f32 v14, v14, v27, -v15
	v_mul_f32_e32 v15, v9, v29
	v_mul_f32_e32 v9, v9, v28
	v_fmac_f32_e32 v3, v18, v22
	v_mul_f32_e32 v16, v19, v22
	v_fmac_f32_e32 v15, v8, v28
	v_fma_f32 v22, v8, v29, -v9
	s_waitcnt lgkmcnt(1)
	v_mul_f32_e32 v8, v11, v31
	v_mul_f32_e32 v9, v11, v30
	v_fmac_f32_e32 v8, v10, v30
	v_fma_f32 v9, v10, v31, -v9
	v_mul_f32_e32 v10, v5, v33
	v_mul_f32_e32 v5, v5, v32
	v_fmac_f32_e32 v10, v4, v32
	v_fma_f32 v4, v4, v33, -v5
	s_waitcnt lgkmcnt(0)
	v_mul_f32_e32 v5, v7, v35
	v_mul_f32_e32 v7, v7, v34
	v_fmac_f32_e32 v5, v6, v34
	v_fma_f32 v6, v6, v35, -v7
	v_fma_f32 v16, v18, v23, -v16
	v_sub_f32_e32 v29, v36, v5
	v_sub_f32_e32 v30, v2, v6
	v_add_f32_e32 v23, v36, v5
	v_add_f32_e32 v26, v16, v4
	v_sub_f32_e32 v31, v3, v10
	v_sub_f32_e32 v16, v16, v4
	v_mul_f32_e32 v4, 0x3f248dbb, v29
	v_mul_f32_e32 v5, 0x3f248dbb, v30
	v_sub_f32_e32 v32, v13, v15
	v_sub_f32_e32 v33, v14, v22
	v_add_f32_e32 v24, v2, v6
	v_add_f32_e32 v25, v3, v10
	;; [unrolled: 1-line block ×4, first 2 shown]
	v_sub_f32_e32 v17, v17, v8
	v_sub_f32_e32 v12, v12, v9
	v_fmac_f32_e32 v4, 0x3f7c1c5c, v31
	v_fmac_f32_e32 v5, 0x3f7c1c5c, v16
	v_mov_b32_e32 v2, v0
	v_mov_b32_e32 v3, v1
	v_mul_f32_e32 v7, 0xbf248dbb, v32
	v_mul_f32_e32 v6, 0xbf248dbb, v33
	v_fmac_f32_e32 v4, 0x3f5db3d7, v17
	v_fmac_f32_e32 v5, 0x3f5db3d7, v12
	;; [unrolled: 1-line block ×10, first 2 shown]
	s_mov_b32 s12, 0xbf248dbb
	v_fmac_f32_e32 v7, 0xbf5db3d7, v17
	v_fmac_f32_e32 v6, 0xbf5db3d7, v12
	v_add_f32_e32 v8, v32, v29
	v_add_f32_e32 v9, v33, v30
	v_mul_f32_e32 v32, 0x3f7c1c5c, v32
	v_mul_f32_e32 v33, 0x3f7c1c5c, v33
	v_fmac_f32_e32 v2, -0.5, v27
	v_fmac_f32_e32 v3, -0.5, v28
	v_add_f32_e32 v34, v13, v15
	v_add_f32_e32 v35, v14, v22
	v_fmac_f32_e32 v7, 0x3eaf1d44, v31
	v_fmac_f32_e32 v6, 0x3eaf1d44, v16
	v_sub_f32_e32 v10, v8, v31
	v_sub_f32_e32 v11, v9, v16
	v_add_f32_e32 v38, v25, v23
	v_add_f32_e32 v39, v26, v24
	v_fma_f32 v31, v31, s12, -v32
	v_fma_f32 v16, v16, s12, -v33
	v_fmac_f32_e32 v2, 0xbf708fb2, v34
	v_fmac_f32_e32 v3, 0xbf708fb2, v35
	;; [unrolled: 1-line block ×4, first 2 shown]
	v_add_f32_e32 v12, v27, v38
	v_add_f32_e32 v17, v28, v39
	v_sub_f32_e32 v2, v2, v5
	v_add_f32_e32 v3, v4, v3
	v_add_f32_e32 v12, v13, v12
	;; [unrolled: 1-line block ×3, first 2 shown]
	v_fma_f32 v18, 2.0, v5, v2
	v_fma_f32 v19, -2.0, v4, v3
	v_mov_b32_e32 v4, v0
	v_mov_b32_e32 v5, v1
	v_add_f32_e32 v12, v15, v12
	v_add_f32_e32 v13, v22, v13
	v_fmac_f32_e32 v4, 0x3f441b7d, v34
	v_fmac_f32_e32 v5, 0x3f441b7d, v35
	v_add_f32_e32 v8, v27, v0
	v_add_f32_e32 v9, v28, v1
	;; [unrolled: 1-line block ×4, first 2 shown]
	v_fmac_f32_e32 v0, 0x3f441b7d, v25
	v_fmac_f32_e32 v1, 0x3f441b7d, v26
	;; [unrolled: 1-line block ×6, first 2 shown]
	v_fmac_f32_e32 v4, -0.5, v27
	v_fmac_f32_e32 v5, -0.5, v28
	v_add_f32_e32 v40, v34, v38
	v_add_f32_e32 v41, v35, v39
	v_fmac_f32_e32 v0, -0.5, v27
	v_fmac_f32_e32 v1, -0.5, v28
	v_fmac_f32_e32 v4, 0xbf708fb2, v25
	v_fmac_f32_e32 v5, 0xbf708fb2, v26
	v_fmac_f32_e32 v8, -0.5, v40
	v_fmac_f32_e32 v9, -0.5, v41
	v_fmac_f32_e32 v31, 0x3eaf1d44, v29
	v_fmac_f32_e32 v16, 0x3eaf1d44, v30
	;; [unrolled: 1-line block ×4, first 2 shown]
	v_sub_f32_e32 v4, v4, v6
	v_add_f32_e32 v5, v7, v5
	v_mul_f32_e32 v36, 0x3f5db3d7, v10
	v_mul_f32_e32 v37, 0x3f5db3d7, v11
	v_fmac_f32_e32 v8, 0xbf5db3d7, v11
	v_fmac_f32_e32 v9, 0x3f5db3d7, v10
	v_sub_f32_e32 v0, v0, v16
	v_add_f32_e32 v1, v31, v1
	v_fma_f32 v6, 2.0, v6, v4
	v_fma_f32 v7, -2.0, v7, v5
	v_fma_f32 v10, 2.0, v37, v8
	v_fma_f32 v11, -2.0, v36, v9
	;; [unrolled: 2-line block ×3, first 2 shown]
	s_waitcnt lgkmcnt(0)
	; wave barrier
	ds_write2_b64 v68, v[12:13], v[2:3] offset1:13
	ds_write2_b64 v68, v[4:5], v[8:9] offset0:26 offset1:39
	ds_write2_b64 v68, v[0:1], v[14:15] offset0:52 offset1:65
	;; [unrolled: 1-line block ×3, first 2 shown]
	ds_write_b64 v68, v[18:19] offset:832
	s_waitcnt lgkmcnt(0)
	; wave barrier
	s_waitcnt lgkmcnt(0)
	ds_read2_b64 v[4:7], v66 offset1:26
	ds_read2_b64 v[12:15], v66 offset0:117 offset1:143
	ds_read2_b64 v[0:3], v66 offset0:52 offset1:78
	;; [unrolled: 1-line block ×3, first 2 shown]
	v_add_u32_e32 v17, 0x1a0, v69
	v_add_u32_e32 v16, 0x270, v69
	s_and_saveexec_b64 s[12:13], s[2:3]
	s_cbranch_execz .LBB0_19
; %bb.18:
	ds_read2_b64 v[18:21], v66 offset0:104 offset1:221
.LBB0_19:
	s_or_b64 exec, exec, s[12:13]
	s_waitcnt lgkmcnt(2)
	v_mul_f32_e32 v22, v54, v13
	v_fmac_f32_e32 v22, v53, v12
	v_mul_f32_e32 v12, v54, v12
	v_fma_f32 v12, v53, v13, -v12
	v_mul_f32_e32 v13, v56, v15
	v_fmac_f32_e32 v13, v55, v14
	v_mul_f32_e32 v14, v56, v14
	v_fma_f32 v14, v55, v15, -v14
	s_waitcnt lgkmcnt(0)
	v_mul_f32_e32 v15, v58, v9
	v_fmac_f32_e32 v15, v57, v8
	v_mul_f32_e32 v8, v58, v8
	v_fma_f32 v23, v57, v9, -v8
	v_mul_f32_e32 v24, v60, v11
	v_mul_f32_e32 v8, v60, v10
	v_fmac_f32_e32 v24, v59, v10
	v_fma_f32 v25, v59, v11, -v8
	v_sub_f32_e32 v8, v4, v22
	v_sub_f32_e32 v9, v5, v12
	;; [unrolled: 1-line block ×4, first 2 shown]
	v_fma_f32 v4, v4, 2.0, -v8
	v_fma_f32 v5, v5, 2.0, -v9
	v_fma_f32 v6, v6, 2.0, -v10
	v_fma_f32 v7, v7, 2.0, -v11
	v_sub_f32_e32 v12, v0, v15
	v_sub_f32_e32 v13, v1, v23
	v_sub_f32_e32 v14, v2, v24
	v_sub_f32_e32 v15, v3, v25
	v_fma_f32 v0, v0, 2.0, -v12
	v_fma_f32 v1, v1, 2.0, -v13
	;; [unrolled: 1-line block ×4, first 2 shown]
	ds_write2_b64 v67, v[4:5], v[6:7] offset1:26
	ds_write2_b64 v67, v[8:9], v[10:11] offset0:117 offset1:143
	ds_write_b64 v67, v[0:1] offset:416
	ds_write_b64 v17, v[12:13] offset:936
	;; [unrolled: 1-line block ×4, first 2 shown]
	s_and_saveexec_b64 s[12:13], s[2:3]
	s_cbranch_execz .LBB0_21
; %bb.20:
	v_mul_f32_e32 v0, v52, v20
	v_fma_f32 v0, v51, v21, -v0
	v_sub_f32_e32 v1, v19, v0
	v_mul_f32_e32 v0, v52, v21
	v_fmac_f32_e32 v0, v51, v20
	v_sub_f32_e32 v0, v18, v0
	v_fma_f32 v3, v19, 2.0, -v1
	v_fma_f32 v2, v18, 2.0, -v0
	ds_write2_b64 v67, v[2:3], v[0:1] offset0:104 offset1:221
.LBB0_21:
	s_or_b64 exec, exec, s[12:13]
	s_waitcnt lgkmcnt(0)
	; wave barrier
	s_waitcnt lgkmcnt(0)
	s_and_b64 exec, exec, s[0:1]
	s_cbranch_execz .LBB0_23
; %bb.22:
	global_load_dwordx2 v[8:9], v61, s[8:9]
	global_load_dwordx2 v[10:11], v61, s[8:9] offset:144
	global_load_dwordx2 v[12:13], v61, s[8:9] offset:288
	;; [unrolled: 1-line block ×4, first 2 shown]
	ds_read_b64 v[20:21], v67
	global_load_dwordx2 v[24:25], v61, s[8:9] offset:720
	global_load_dwordx2 v[26:27], v61, s[8:9] offset:864
	;; [unrolled: 1-line block ×3, first 2 shown]
	v_mad_u64_u32 v[18:19], s[0:1], s6, v48, 0
	v_mad_u64_u32 v[22:23], s[2:3], s4, v62, 0
	s_mul_i32 s3, s5, 0x90
	s_mul_hi_u32 s6, s4, 0x90
	s_add_i32 s3, s6, s3
	s_waitcnt lgkmcnt(0)
	v_mad_u64_u32 v[30:31], s[6:7], s7, v48, v[19:20]
	s_mul_i32 s2, s4, 0x90
	v_mov_b32_e32 v33, s11
	v_mov_b32_e32 v19, v30
	v_lshlrev_b64 v[18:19], 3, v[18:19]
	v_lshl_add_u32 v36, v63, 3, v61
	v_add_co_u32_e32 v18, vcc, s10, v18
	v_addc_co_u32_e32 v19, vcc, v33, v19, vcc
	ds_read2_b64 v[0:3], v36 offset0:18 offset1:36
	ds_read2_b64 v[4:7], v36 offset0:54 offset1:72
	v_mov_b32_e32 v34, s3
	s_mov_b32 s0, 0x11811812
	s_mov_b32 s1, 0x3f718118
	v_mov_b32_e32 v37, s3
	s_waitcnt vmcnt(6) lgkmcnt(1)
	v_mul_f32_e32 v33, v1, v11
	v_mul_f32_e32 v11, v0, v11
	s_waitcnt vmcnt(4) lgkmcnt(0)
	v_mul_f32_e32 v35, v5, v15
	s_waitcnt vmcnt(2)
	v_mad_u64_u32 v[31:32], s[4:5], s5, v62, v[23:24]
	v_mov_b32_e32 v32, s3
	v_mul_f32_e32 v15, v4, v15
	v_mov_b32_e32 v23, v31
	v_lshlrev_b64 v[22:23], 3, v[22:23]
	v_fmac_f32_e32 v33, v0, v10
	v_add_co_u32_e32 v18, vcc, v18, v22
	v_addc_co_u32_e32 v19, vcc, v19, v23, vcc
	v_add_co_u32_e32 v22, vcc, s2, v18
	v_addc_co_u32_e32 v23, vcc, v19, v34, vcc
	;; [unrolled: 2-line block ×3, first 2 shown]
	v_mul_f32_e32 v32, v21, v9
	v_mul_f32_e32 v9, v20, v9
	;; [unrolled: 1-line block ×4, first 2 shown]
	v_fmac_f32_e32 v32, v20, v8
	v_fma_f32 v8, v8, v21, -v9
	v_fma_f32 v9, v10, v1, -v11
	v_fmac_f32_e32 v34, v2, v12
	v_fma_f32 v12, v12, v3, -v13
	v_cvt_f64_f32_e32 v[0:1], v32
	v_cvt_f64_f32_e32 v[2:3], v8
	v_fmac_f32_e32 v35, v4, v14
	v_fma_f32 v20, v14, v5, -v15
	v_cvt_f64_f32_e32 v[4:5], v33
	v_cvt_f64_f32_e32 v[8:9], v9
	v_cvt_f64_f32_e32 v[10:11], v34
	v_cvt_f64_f32_e32 v[12:13], v12
	v_mul_f64 v[0:1], v[0:1], s[0:1]
	v_mul_f64 v[2:3], v[2:3], s[0:1]
	;; [unrolled: 1-line block ×6, first 2 shown]
	v_cvt_f64_f32_e32 v[14:15], v35
	global_load_dwordx2 v[34:35], v61, s[8:9] offset:1152
	v_cvt_f32_f64_e32 v0, v[0:1]
	v_cvt_f32_f64_e32 v1, v[2:3]
	;; [unrolled: 1-line block ×6, first 2 shown]
	global_store_dwordx2 v[18:19], v[0:1], off
	global_store_dwordx2 v[22:23], v[2:3], off
	;; [unrolled: 1-line block ×3, first 2 shown]
	v_cvt_f64_f32_e32 v[20:21], v20
	global_load_dwordx2 v[4:5], v61, s[8:9] offset:1296
	v_mul_f32_e32 v38, v7, v17
	v_mul_f64 v[14:15], v[14:15], s[0:1]
	v_mul_f64 v[20:21], v[20:21], s[0:1]
	v_fmac_f32_e32 v38, v6, v16
	v_cvt_f64_f32_e32 v[32:33], v38
	v_mul_f32_e32 v0, v6, v17
	v_fma_f32 v0, v16, v7, -v0
	v_cvt_f64_f32_e32 v[6:7], v0
	v_mul_f64 v[10:11], v[32:33], s[0:1]
	ds_read2_b64 v[0:3], v36 offset0:90 offset1:108
	v_cvt_f32_f64_e32 v8, v[14:15]
	global_load_dwordx2 v[14:15], v61, s[8:9] offset:1440
	v_cvt_f32_f64_e32 v9, v[20:21]
	v_mul_f64 v[6:7], v[6:7], s[0:1]
	v_add_co_u32_e32 v12, vcc, s2, v30
	v_addc_co_u32_e32 v13, vcc, v31, v37, vcc
	global_store_dwordx2 v[12:13], v[8:9], off
	s_waitcnt lgkmcnt(0)
	v_mul_f32_e32 v9, v1, v25
	v_fmac_f32_e32 v9, v0, v24
	v_cvt_f32_f64_e32 v8, v[10:11]
	v_cvt_f64_f32_e32 v[10:11], v9
	v_cvt_f32_f64_e32 v9, v[6:7]
	v_mul_f32_e32 v0, v0, v25
	v_fma_f32 v0, v24, v1, -v0
	v_mul_f64 v[6:7], v[10:11], s[0:1]
	v_mov_b32_e32 v11, s3
	v_add_co_u32_e32 v10, vcc, s2, v12
	v_addc_co_u32_e32 v11, vcc, v13, v11, vcc
	global_store_dwordx2 v[10:11], v[8:9], off
	global_load_dwordx2 v[8:9], v61, s[8:9] offset:1584
	v_cvt_f64_f32_e32 v[0:1], v0
	v_cvt_f32_f64_e32 v6, v[6:7]
	v_mov_b32_e32 v18, s3
	v_add_co_u32_e32 v10, vcc, s2, v10
	v_mul_f64 v[0:1], v[0:1], s[0:1]
	v_addc_co_u32_e32 v11, vcc, v11, v18, vcc
	v_cvt_f32_f64_e32 v7, v[0:1]
	s_waitcnt vmcnt(10)
	v_mul_f32_e32 v0, v3, v27
	v_fmac_f32_e32 v0, v2, v26
	v_cvt_f64_f32_e32 v[12:13], v0
	v_mul_f32_e32 v0, v2, v27
	v_fma_f32 v0, v26, v3, -v0
	v_cvt_f64_f32_e32 v[16:17], v0
	ds_read2_b64 v[0:3], v36 offset0:126 offset1:144
	global_store_dwordx2 v[10:11], v[6:7], off
	v_mul_f64 v[6:7], v[12:13], s[0:1]
	v_mul_f64 v[12:13], v[16:17], s[0:1]
	v_add_co_u32_e32 v10, vcc, s2, v10
	s_waitcnt vmcnt(10) lgkmcnt(0)
	v_mul_f32_e32 v16, v1, v29
	v_fmac_f32_e32 v16, v0, v28
	v_mul_f32_e32 v0, v0, v29
	v_fma_f32 v0, v28, v1, -v0
	v_cvt_f64_f32_e32 v[0:1], v0
	v_cvt_f64_f32_e32 v[16:17], v16
	v_cvt_f32_f64_e32 v6, v[6:7]
	v_cvt_f32_f64_e32 v7, v[12:13]
	v_mul_f64 v[0:1], v[0:1], s[0:1]
	v_mul_f64 v[12:13], v[16:17], s[0:1]
	v_mov_b32_e32 v16, s3
	v_addc_co_u32_e32 v11, vcc, v11, v16, vcc
	global_store_dwordx2 v[10:11], v[6:7], off
	v_add_co_u32_e32 v10, vcc, s2, v10
	v_cvt_f32_f64_e32 v7, v[0:1]
	s_waitcnt vmcnt(10)
	v_mul_f32_e32 v0, v3, v35
	v_fmac_f32_e32 v0, v2, v34
	v_cvt_f32_f64_e32 v6, v[12:13]
	v_cvt_f64_f32_e32 v[12:13], v0
	v_mul_f32_e32 v0, v2, v35
	v_fma_f32 v0, v34, v3, -v0
	v_cvt_f64_f32_e32 v[16:17], v0
	ds_read2_b64 v[0:3], v36 offset0:162 offset1:180
	v_addc_co_u32_e32 v11, vcc, v11, v18, vcc
	global_store_dwordx2 v[10:11], v[6:7], off
	v_mul_f64 v[6:7], v[12:13], s[0:1]
	v_mul_f64 v[12:13], v[16:17], s[0:1]
	s_waitcnt vmcnt(7) lgkmcnt(0)
	v_mul_f32_e32 v16, v1, v5
	v_fmac_f32_e32 v16, v0, v4
	v_mul_f32_e32 v0, v0, v5
	v_fma_f32 v0, v4, v1, -v0
	v_cvt_f64_f32_e32 v[0:1], v0
	v_cvt_f64_f32_e32 v[16:17], v16
	v_cvt_f32_f64_e32 v4, v[6:7]
	v_cvt_f32_f64_e32 v5, v[12:13]
	v_mul_f64 v[0:1], v[0:1], s[0:1]
	v_mul_f64 v[6:7], v[16:17], s[0:1]
	v_mov_b32_e32 v12, s3
	v_add_co_u32_e32 v10, vcc, s2, v10
	v_addc_co_u32_e32 v11, vcc, v11, v12, vcc
	global_store_dwordx2 v[10:11], v[4:5], off
	v_cvt_f32_f64_e32 v5, v[0:1]
	s_waitcnt vmcnt(7)
	v_mul_f32_e32 v0, v3, v15
	v_fmac_f32_e32 v0, v2, v14
	v_cvt_f32_f64_e32 v4, v[6:7]
	v_cvt_f64_f32_e32 v[6:7], v0
	v_mul_f32_e32 v0, v2, v15
	v_fma_f32 v0, v14, v3, -v0
	v_cvt_f64_f32_e32 v[12:13], v0
	ds_read2_b64 v[0:3], v36 offset0:198 offset1:216
	v_mov_b32_e32 v16, s3
	v_add_co_u32_e32 v10, vcc, s2, v10
	v_addc_co_u32_e32 v11, vcc, v11, v16, vcc
	global_store_dwordx2 v[10:11], v[4:5], off
	v_mul_f64 v[4:5], v[6:7], s[0:1]
	v_mul_f64 v[6:7], v[12:13], s[0:1]
	s_waitcnt vmcnt(5) lgkmcnt(0)
	v_mul_f32_e32 v12, v1, v9
	v_fmac_f32_e32 v12, v0, v8
	v_mul_f32_e32 v0, v0, v9
	v_fma_f32 v0, v8, v1, -v0
	v_cvt_f64_f32_e32 v[12:13], v12
	v_cvt_f64_f32_e32 v[0:1], v0
	v_cvt_f32_f64_e32 v4, v[4:5]
	v_cvt_f32_f64_e32 v5, v[6:7]
	v_mul_f64 v[6:7], v[12:13], s[0:1]
	v_mul_f64 v[0:1], v[0:1], s[0:1]
	v_mov_b32_e32 v9, s3
	v_add_co_u32_e32 v8, vcc, s2, v10
	v_addc_co_u32_e32 v9, vcc, v11, v9, vcc
	global_store_dwordx2 v[8:9], v[4:5], off
	v_cvt_f32_f64_e32 v4, v[6:7]
	v_cvt_f32_f64_e32 v5, v[0:1]
	v_mov_b32_e32 v1, s3
	v_add_co_u32_e32 v0, vcc, s2, v8
	v_addc_co_u32_e32 v1, vcc, v9, v1, vcc
	global_store_dwordx2 v[0:1], v[4:5], off
	global_load_dwordx2 v[4:5], v61, s[8:9] offset:1728
	v_add_co_u32_e32 v0, vcc, s2, v0
	s_waitcnt vmcnt(0)
	v_mul_f32_e32 v6, v3, v5
	v_fmac_f32_e32 v6, v2, v4
	v_mul_f32_e32 v2, v2, v5
	v_fma_f32 v2, v4, v3, -v2
	v_cvt_f64_f32_e32 v[6:7], v6
	v_cvt_f64_f32_e32 v[2:3], v2
	v_mul_f64 v[4:5], v[6:7], s[0:1]
	v_mul_f64 v[2:3], v[2:3], s[0:1]
	v_cvt_f32_f64_e32 v4, v[4:5]
	v_cvt_f32_f64_e32 v5, v[2:3]
	v_mov_b32_e32 v2, s3
	v_addc_co_u32_e32 v1, vcc, v1, v2, vcc
	global_store_dwordx2 v[0:1], v[4:5], off
.LBB0_23:
	s_endpgm
	.section	.rodata,"a",@progbits
	.p2align	6, 0x0
	.amdhsa_kernel bluestein_single_fwd_len234_dim1_sp_op_CI_CI
		.amdhsa_group_segment_fixed_size 3744
		.amdhsa_private_segment_fixed_size 0
		.amdhsa_kernarg_size 104
		.amdhsa_user_sgpr_count 6
		.amdhsa_user_sgpr_private_segment_buffer 1
		.amdhsa_user_sgpr_dispatch_ptr 0
		.amdhsa_user_sgpr_queue_ptr 0
		.amdhsa_user_sgpr_kernarg_segment_ptr 1
		.amdhsa_user_sgpr_dispatch_id 0
		.amdhsa_user_sgpr_flat_scratch_init 0
		.amdhsa_user_sgpr_private_segment_size 0
		.amdhsa_uses_dynamic_stack 0
		.amdhsa_system_sgpr_private_segment_wavefront_offset 0
		.amdhsa_system_sgpr_workgroup_id_x 1
		.amdhsa_system_sgpr_workgroup_id_y 0
		.amdhsa_system_sgpr_workgroup_id_z 0
		.amdhsa_system_sgpr_workgroup_info 0
		.amdhsa_system_vgpr_workitem_id 0
		.amdhsa_next_free_vgpr 141
		.amdhsa_next_free_sgpr 20
		.amdhsa_reserve_vcc 1
		.amdhsa_reserve_flat_scratch 0
		.amdhsa_float_round_mode_32 0
		.amdhsa_float_round_mode_16_64 0
		.amdhsa_float_denorm_mode_32 3
		.amdhsa_float_denorm_mode_16_64 3
		.amdhsa_dx10_clamp 1
		.amdhsa_ieee_mode 1
		.amdhsa_fp16_overflow 0
		.amdhsa_exception_fp_ieee_invalid_op 0
		.amdhsa_exception_fp_denorm_src 0
		.amdhsa_exception_fp_ieee_div_zero 0
		.amdhsa_exception_fp_ieee_overflow 0
		.amdhsa_exception_fp_ieee_underflow 0
		.amdhsa_exception_fp_ieee_inexact 0
		.amdhsa_exception_int_div_zero 0
	.end_amdhsa_kernel
	.text
.Lfunc_end0:
	.size	bluestein_single_fwd_len234_dim1_sp_op_CI_CI, .Lfunc_end0-bluestein_single_fwd_len234_dim1_sp_op_CI_CI
                                        ; -- End function
	.section	.AMDGPU.csdata,"",@progbits
; Kernel info:
; codeLenInByte = 11688
; NumSgprs: 24
; NumVgprs: 141
; ScratchSize: 0
; MemoryBound: 0
; FloatMode: 240
; IeeeMode: 1
; LDSByteSize: 3744 bytes/workgroup (compile time only)
; SGPRBlocks: 2
; VGPRBlocks: 35
; NumSGPRsForWavesPerEU: 24
; NumVGPRsForWavesPerEU: 141
; Occupancy: 1
; WaveLimiterHint : 1
; COMPUTE_PGM_RSRC2:SCRATCH_EN: 0
; COMPUTE_PGM_RSRC2:USER_SGPR: 6
; COMPUTE_PGM_RSRC2:TRAP_HANDLER: 0
; COMPUTE_PGM_RSRC2:TGID_X_EN: 1
; COMPUTE_PGM_RSRC2:TGID_Y_EN: 0
; COMPUTE_PGM_RSRC2:TGID_Z_EN: 0
; COMPUTE_PGM_RSRC2:TIDIG_COMP_CNT: 0
	.type	__hip_cuid_6432805573b5e715,@object ; @__hip_cuid_6432805573b5e715
	.section	.bss,"aw",@nobits
	.globl	__hip_cuid_6432805573b5e715
__hip_cuid_6432805573b5e715:
	.byte	0                               ; 0x0
	.size	__hip_cuid_6432805573b5e715, 1

	.ident	"AMD clang version 19.0.0git (https://github.com/RadeonOpenCompute/llvm-project roc-6.4.0 25133 c7fe45cf4b819c5991fe208aaa96edf142730f1d)"
	.section	".note.GNU-stack","",@progbits
	.addrsig
	.addrsig_sym __hip_cuid_6432805573b5e715
	.amdgpu_metadata
---
amdhsa.kernels:
  - .args:
      - .actual_access:  read_only
        .address_space:  global
        .offset:         0
        .size:           8
        .value_kind:     global_buffer
      - .actual_access:  read_only
        .address_space:  global
        .offset:         8
        .size:           8
        .value_kind:     global_buffer
      - .actual_access:  read_only
        .address_space:  global
        .offset:         16
        .size:           8
        .value_kind:     global_buffer
      - .actual_access:  read_only
        .address_space:  global
        .offset:         24
        .size:           8
        .value_kind:     global_buffer
      - .actual_access:  read_only
        .address_space:  global
        .offset:         32
        .size:           8
        .value_kind:     global_buffer
      - .offset:         40
        .size:           8
        .value_kind:     by_value
      - .address_space:  global
        .offset:         48
        .size:           8
        .value_kind:     global_buffer
      - .address_space:  global
        .offset:         56
        .size:           8
        .value_kind:     global_buffer
      - .address_space:  global
        .offset:         64
        .size:           8
        .value_kind:     global_buffer
      - .address_space:  global
        .offset:         72
        .size:           8
        .value_kind:     global_buffer
      - .offset:         80
        .size:           4
        .value_kind:     by_value
      - .address_space:  global
        .offset:         88
        .size:           8
        .value_kind:     global_buffer
      - .address_space:  global
        .offset:         96
        .size:           8
        .value_kind:     global_buffer
    .group_segment_fixed_size: 3744
    .kernarg_segment_align: 8
    .kernarg_segment_size: 104
    .language:       OpenCL C
    .language_version:
      - 2
      - 0
    .max_flat_workgroup_size: 52
    .name:           bluestein_single_fwd_len234_dim1_sp_op_CI_CI
    .private_segment_fixed_size: 0
    .sgpr_count:     24
    .sgpr_spill_count: 0
    .symbol:         bluestein_single_fwd_len234_dim1_sp_op_CI_CI.kd
    .uniform_work_group_size: 1
    .uses_dynamic_stack: false
    .vgpr_count:     141
    .vgpr_spill_count: 0
    .wavefront_size: 64
amdhsa.target:   amdgcn-amd-amdhsa--gfx906
amdhsa.version:
  - 1
  - 2
...

	.end_amdgpu_metadata
